;; amdgpu-corpus repo=ROCm/rocFFT kind=compiled arch=gfx906 opt=O3
	.text
	.amdgcn_target "amdgcn-amd-amdhsa--gfx906"
	.amdhsa_code_object_version 6
	.protected	fft_rtc_fwd_len273_factors_13_3_7_wgs_52_tpt_13_half_op_CI_CI_sbrr_dirReg ; -- Begin function fft_rtc_fwd_len273_factors_13_3_7_wgs_52_tpt_13_half_op_CI_CI_sbrr_dirReg
	.globl	fft_rtc_fwd_len273_factors_13_3_7_wgs_52_tpt_13_half_op_CI_CI_sbrr_dirReg
	.p2align	8
	.type	fft_rtc_fwd_len273_factors_13_3_7_wgs_52_tpt_13_half_op_CI_CI_sbrr_dirReg,@function
fft_rtc_fwd_len273_factors_13_3_7_wgs_52_tpt_13_half_op_CI_CI_sbrr_dirReg: ; @fft_rtc_fwd_len273_factors_13_3_7_wgs_52_tpt_13_half_op_CI_CI_sbrr_dirReg
; %bb.0:
	s_load_dwordx4 s[16:19], s[4:5], 0x18
	s_load_dwordx4 s[12:15], s[4:5], 0x0
	;; [unrolled: 1-line block ×3, first 2 shown]
	v_mul_u32_u24_e32 v1, 0x13b2, v0
	v_lshrrev_b32_e32 v11, 16, v1
	s_waitcnt lgkmcnt(0)
	s_load_dwordx2 s[20:21], s[16:17], 0x0
	s_load_dwordx2 s[2:3], s[18:19], 0x0
	v_cmp_lt_u64_e64 s[0:1], s[14:15], 2
	v_mov_b32_e32 v7, 0
	v_mov_b32_e32 v5, 0
	v_lshl_add_u32 v9, s6, 2, v11
	v_mov_b32_e32 v10, v7
	s_and_b64 vcc, exec, s[0:1]
	v_mov_b32_e32 v6, 0
	s_cbranch_vccnz .LBB0_8
; %bb.1:
	s_load_dwordx2 s[0:1], s[4:5], 0x10
	s_add_u32 s6, s18, 8
	s_addc_u32 s7, s19, 0
	s_add_u32 s22, s16, 8
	s_addc_u32 s23, s17, 0
	v_mov_b32_e32 v5, 0
	s_waitcnt lgkmcnt(0)
	s_add_u32 s24, s0, 8
	v_mov_b32_e32 v6, 0
	v_mov_b32_e32 v1, v5
	s_addc_u32 s25, s1, 0
	s_mov_b64 s[26:27], 1
	v_mov_b32_e32 v2, v6
.LBB0_2:                                ; =>This Inner Loop Header: Depth=1
	s_load_dwordx2 s[28:29], s[24:25], 0x0
                                        ; implicit-def: $vgpr3_vgpr4
	s_waitcnt lgkmcnt(0)
	v_or_b32_e32 v8, s29, v10
	v_cmp_ne_u64_e32 vcc, 0, v[7:8]
	s_and_saveexec_b64 s[0:1], vcc
	s_xor_b64 s[30:31], exec, s[0:1]
	s_cbranch_execz .LBB0_4
; %bb.3:                                ;   in Loop: Header=BB0_2 Depth=1
	v_cvt_f32_u32_e32 v3, s28
	v_cvt_f32_u32_e32 v4, s29
	s_sub_u32 s0, 0, s28
	s_subb_u32 s1, 0, s29
	v_mac_f32_e32 v3, 0x4f800000, v4
	v_rcp_f32_e32 v3, v3
	v_mul_f32_e32 v3, 0x5f7ffffc, v3
	v_mul_f32_e32 v4, 0x2f800000, v3
	v_trunc_f32_e32 v4, v4
	v_mac_f32_e32 v3, 0xcf800000, v4
	v_cvt_u32_f32_e32 v4, v4
	v_cvt_u32_f32_e32 v3, v3
	v_mul_lo_u32 v8, s0, v4
	v_mul_hi_u32 v12, s0, v3
	v_mul_lo_u32 v14, s1, v3
	v_mul_lo_u32 v13, s0, v3
	v_add_u32_e32 v8, v12, v8
	v_add_u32_e32 v8, v8, v14
	v_mul_hi_u32 v12, v3, v13
	v_mul_lo_u32 v14, v3, v8
	v_mul_hi_u32 v16, v3, v8
	v_mul_hi_u32 v15, v4, v13
	v_mul_lo_u32 v13, v4, v13
	v_mul_hi_u32 v17, v4, v8
	v_add_co_u32_e32 v12, vcc, v12, v14
	v_addc_co_u32_e32 v14, vcc, 0, v16, vcc
	v_mul_lo_u32 v8, v4, v8
	v_add_co_u32_e32 v12, vcc, v12, v13
	v_addc_co_u32_e32 v12, vcc, v14, v15, vcc
	v_addc_co_u32_e32 v13, vcc, 0, v17, vcc
	v_add_co_u32_e32 v8, vcc, v12, v8
	v_addc_co_u32_e32 v12, vcc, 0, v13, vcc
	v_add_co_u32_e32 v3, vcc, v3, v8
	v_addc_co_u32_e32 v4, vcc, v4, v12, vcc
	v_mul_lo_u32 v8, s0, v4
	v_mul_hi_u32 v12, s0, v3
	v_mul_lo_u32 v13, s1, v3
	v_mul_lo_u32 v14, s0, v3
	v_add_u32_e32 v8, v12, v8
	v_add_u32_e32 v8, v8, v13
	v_mul_lo_u32 v15, v3, v8
	v_mul_hi_u32 v16, v3, v14
	v_mul_hi_u32 v17, v3, v8
	;; [unrolled: 1-line block ×3, first 2 shown]
	v_mul_lo_u32 v14, v4, v14
	v_mul_hi_u32 v12, v4, v8
	v_add_co_u32_e32 v15, vcc, v16, v15
	v_addc_co_u32_e32 v16, vcc, 0, v17, vcc
	v_mul_lo_u32 v8, v4, v8
	v_add_co_u32_e32 v14, vcc, v15, v14
	v_addc_co_u32_e32 v13, vcc, v16, v13, vcc
	v_addc_co_u32_e32 v12, vcc, 0, v12, vcc
	v_add_co_u32_e32 v8, vcc, v13, v8
	v_addc_co_u32_e32 v12, vcc, 0, v12, vcc
	v_add_co_u32_e32 v8, vcc, v3, v8
	v_addc_co_u32_e32 v12, vcc, v4, v12, vcc
	v_mad_u64_u32 v[3:4], s[0:1], v9, v12, 0
	v_mul_hi_u32 v13, v9, v8
	v_add_co_u32_e32 v14, vcc, v13, v3
	v_addc_co_u32_e32 v15, vcc, 0, v4, vcc
	v_mad_u64_u32 v[3:4], s[0:1], v10, v8, 0
	v_mad_u64_u32 v[12:13], s[0:1], v10, v12, 0
	v_add_co_u32_e32 v3, vcc, v14, v3
	v_addc_co_u32_e32 v3, vcc, v15, v4, vcc
	v_addc_co_u32_e32 v4, vcc, 0, v13, vcc
	v_add_co_u32_e32 v8, vcc, v3, v12
	v_addc_co_u32_e32 v12, vcc, 0, v4, vcc
	v_mul_lo_u32 v13, s29, v8
	v_mul_lo_u32 v14, s28, v12
	v_mad_u64_u32 v[3:4], s[0:1], s28, v8, 0
	v_add3_u32 v4, v4, v14, v13
	v_sub_u32_e32 v13, v10, v4
	v_mov_b32_e32 v14, s29
	v_sub_co_u32_e32 v3, vcc, v9, v3
	v_subb_co_u32_e64 v13, s[0:1], v13, v14, vcc
	v_subrev_co_u32_e64 v14, s[0:1], s28, v3
	v_subbrev_co_u32_e64 v13, s[0:1], 0, v13, s[0:1]
	v_cmp_le_u32_e64 s[0:1], s29, v13
	v_cndmask_b32_e64 v15, 0, -1, s[0:1]
	v_cmp_le_u32_e64 s[0:1], s28, v14
	v_cndmask_b32_e64 v14, 0, -1, s[0:1]
	v_cmp_eq_u32_e64 s[0:1], s29, v13
	v_cndmask_b32_e64 v13, v15, v14, s[0:1]
	v_add_co_u32_e64 v14, s[0:1], 2, v8
	v_addc_co_u32_e64 v15, s[0:1], 0, v12, s[0:1]
	v_add_co_u32_e64 v16, s[0:1], 1, v8
	v_addc_co_u32_e64 v17, s[0:1], 0, v12, s[0:1]
	v_subb_co_u32_e32 v4, vcc, v10, v4, vcc
	v_cmp_ne_u32_e64 s[0:1], 0, v13
	v_cmp_le_u32_e32 vcc, s29, v4
	v_cndmask_b32_e64 v13, v17, v15, s[0:1]
	v_cndmask_b32_e64 v15, 0, -1, vcc
	v_cmp_le_u32_e32 vcc, s28, v3
	v_cndmask_b32_e64 v3, 0, -1, vcc
	v_cmp_eq_u32_e32 vcc, s29, v4
	v_cndmask_b32_e32 v3, v15, v3, vcc
	v_cmp_ne_u32_e32 vcc, 0, v3
	v_cndmask_b32_e64 v3, v16, v14, s[0:1]
	v_cndmask_b32_e32 v4, v12, v13, vcc
	v_cndmask_b32_e32 v3, v8, v3, vcc
.LBB0_4:                                ;   in Loop: Header=BB0_2 Depth=1
	s_andn2_saveexec_b64 s[0:1], s[30:31]
	s_cbranch_execz .LBB0_6
; %bb.5:                                ;   in Loop: Header=BB0_2 Depth=1
	v_cvt_f32_u32_e32 v3, s28
	s_sub_i32 s30, 0, s28
	v_rcp_iflag_f32_e32 v3, v3
	v_mul_f32_e32 v3, 0x4f7ffffe, v3
	v_cvt_u32_f32_e32 v3, v3
	v_mul_lo_u32 v4, s30, v3
	v_mul_hi_u32 v4, v3, v4
	v_add_u32_e32 v3, v3, v4
	v_mul_hi_u32 v3, v9, v3
	v_mul_lo_u32 v4, v3, s28
	v_add_u32_e32 v8, 1, v3
	v_sub_u32_e32 v4, v9, v4
	v_subrev_u32_e32 v12, s28, v4
	v_cmp_le_u32_e32 vcc, s28, v4
	v_cndmask_b32_e32 v4, v4, v12, vcc
	v_cndmask_b32_e32 v3, v3, v8, vcc
	v_add_u32_e32 v8, 1, v3
	v_cmp_le_u32_e32 vcc, s28, v4
	v_cndmask_b32_e32 v3, v3, v8, vcc
	v_mov_b32_e32 v4, v7
.LBB0_6:                                ;   in Loop: Header=BB0_2 Depth=1
	s_or_b64 exec, exec, s[0:1]
	v_mul_lo_u32 v8, v4, s28
	v_mul_lo_u32 v14, v3, s29
	v_mad_u64_u32 v[12:13], s[0:1], v3, s28, 0
	s_load_dwordx2 s[0:1], s[22:23], 0x0
	s_load_dwordx2 s[28:29], s[6:7], 0x0
	v_add3_u32 v8, v13, v14, v8
	v_sub_co_u32_e32 v9, vcc, v9, v12
	v_subb_co_u32_e32 v8, vcc, v10, v8, vcc
	s_waitcnt lgkmcnt(0)
	v_mul_lo_u32 v10, s0, v8
	v_mul_lo_u32 v12, s1, v9
	v_mad_u64_u32 v[5:6], s[0:1], s0, v9, v[5:6]
	v_mul_lo_u32 v8, s28, v8
	v_mul_lo_u32 v13, s29, v9
	v_mad_u64_u32 v[1:2], s[0:1], s28, v9, v[1:2]
	s_add_u32 s26, s26, 1
	s_addc_u32 s27, s27, 0
	s_add_u32 s6, s6, 8
	v_add3_u32 v2, v13, v2, v8
	s_addc_u32 s7, s7, 0
	v_mov_b32_e32 v8, s14
	s_add_u32 s22, s22, 8
	v_mov_b32_e32 v9, s15
	s_addc_u32 s23, s23, 0
	v_cmp_ge_u64_e32 vcc, s[26:27], v[8:9]
	s_add_u32 s24, s24, 8
	v_add3_u32 v6, v12, v6, v10
	s_addc_u32 s25, s25, 0
	s_cbranch_vccnz .LBB0_9
; %bb.7:                                ;   in Loop: Header=BB0_2 Depth=1
	v_mov_b32_e32 v10, v4
	v_mov_b32_e32 v9, v3
	s_branch .LBB0_2
.LBB0_8:
	v_mov_b32_e32 v1, v5
	v_mov_b32_e32 v3, v9
	;; [unrolled: 1-line block ×4, first 2 shown]
.LBB0_9:
	s_load_dwordx2 s[0:1], s[4:5], 0x28
	s_lshl_b64 s[14:15], s[14:15], 3
	s_add_u32 s4, s18, s14
	s_addc_u32 s5, s19, s15
	v_and_b32_e32 v7, 3, v11
	s_waitcnt lgkmcnt(0)
	v_cmp_gt_u64_e32 vcc, s[0:1], v[3:4]
	v_cmp_le_u64_e64 s[0:1], s[0:1], v[3:4]
                                        ; implicit-def: $vgpr29
                                        ; implicit-def: $vgpr31
	s_and_saveexec_b64 s[6:7], s[0:1]
	s_xor_b64 s[0:1], exec, s[6:7]
; %bb.10:
	s_mov_b32 s6, 0x13b13b14
	v_mul_hi_u32 v5, v0, s6
	v_mul_u32_u24_e32 v5, 13, v5
	v_sub_u32_e32 v29, v0, v5
	v_add_u32_e32 v31, 13, v29
                                        ; implicit-def: $vgpr0
                                        ; implicit-def: $vgpr5_vgpr6
; %bb.11:
	s_or_saveexec_b64 s[6:7], s[0:1]
	v_mul_u32_u24_e32 v7, 0x111, v7
	v_lshlrev_b32_e32 v32, 2, v7
	s_xor_b64 exec, exec, s[6:7]
	s_cbranch_execz .LBB0_13
; %bb.12:
	s_add_u32 s0, s16, s14
	s_mov_b32 s14, 0x13b13b14
	v_mul_hi_u32 v7, v0, s14
	s_addc_u32 s1, s17, s15
	s_load_dwordx2 s[0:1], s[0:1], 0x0
	v_lshlrev_b64 v[5:6], 2, v[5:6]
	v_mul_u32_u24_e32 v7, 13, v7
	v_sub_u32_e32 v29, v0, v7
	v_mad_u64_u32 v[7:8], s[14:15], s20, v29, 0
	s_waitcnt lgkmcnt(0)
	v_mul_lo_u32 v13, s1, v3
	v_mul_lo_u32 v14, s0, v4
	v_mad_u64_u32 v[9:10], s[0:1], s0, v3, 0
	v_mov_b32_e32 v0, v8
	v_mad_u64_u32 v[11:12], s[0:1], s21, v29, v[0:1]
	v_add3_u32 v10, v10, v14, v13
	v_lshlrev_b64 v[9:10], 2, v[9:10]
	v_mov_b32_e32 v8, v11
	v_mov_b32_e32 v0, s9
	v_add_co_u32_e64 v11, s[0:1], s8, v9
	v_add_u32_e32 v31, 13, v29
	v_addc_co_u32_e64 v0, s[0:1], v0, v10, s[0:1]
	v_mad_u64_u32 v[9:10], s[0:1], s20, v31, 0
	v_add_co_u32_e64 v30, s[0:1], v11, v5
	v_addc_co_u32_e64 v53, s[0:1], v0, v6, s[0:1]
	v_mov_b32_e32 v0, v10
	v_add_u32_e32 v13, 26, v29
	v_lshlrev_b64 v[5:6], 2, v[7:8]
	v_mad_u64_u32 v[7:8], s[0:1], s21, v31, v[0:1]
	v_mad_u64_u32 v[11:12], s[0:1], s20, v13, 0
	v_add_co_u32_e64 v5, s[0:1], v30, v5
	v_mov_b32_e32 v10, v7
	v_mov_b32_e32 v0, v12
	v_add_u32_e32 v15, 39, v29
	v_addc_co_u32_e64 v6, s[0:1], v53, v6, s[0:1]
	v_lshlrev_b64 v[7:8], 2, v[9:10]
	v_mad_u64_u32 v[9:10], s[0:1], s21, v13, v[0:1]
	v_mad_u64_u32 v[13:14], s[0:1], s20, v15, 0
	v_add_co_u32_e64 v7, s[0:1], v30, v7
	v_mov_b32_e32 v12, v9
	v_mov_b32_e32 v0, v14
	v_add_u32_e32 v17, 52, v29
	v_addc_co_u32_e64 v8, s[0:1], v53, v8, s[0:1]
	;; [unrolled: 8-line block ×13, first 2 shown]
	v_lshlrev_b64 v[35:36], 2, v[37:38]
	v_mad_u64_u32 v[37:38], s[0:1], s21, v41, v[0:1]
	v_mad_u64_u32 v[41:42], s[0:1], s20, v43, 0
	v_add_co_u32_e64 v35, s[0:1], v30, v35
	v_mov_b32_e32 v40, v37
	v_mov_b32_e32 v0, v42
	v_or_b32_e32 v45, 0xd0, v29
	v_addc_co_u32_e64 v36, s[0:1], v53, v36, s[0:1]
	v_lshlrev_b64 v[37:38], 2, v[39:40]
	v_mad_u64_u32 v[39:40], s[0:1], s21, v43, v[0:1]
	v_mad_u64_u32 v[43:44], s[0:1], s20, v45, 0
	v_add_co_u32_e64 v37, s[0:1], v30, v37
	v_mov_b32_e32 v42, v39
	v_mov_b32_e32 v0, v44
	v_add_u32_e32 v47, 0xdd, v29
	v_addc_co_u32_e64 v38, s[0:1], v53, v38, s[0:1]
	v_lshlrev_b64 v[39:40], 2, v[41:42]
	v_mad_u64_u32 v[41:42], s[0:1], s21, v45, v[0:1]
	v_mad_u64_u32 v[45:46], s[0:1], s20, v47, 0
	v_add_co_u32_e64 v39, s[0:1], v30, v39
	v_mov_b32_e32 v44, v41
	v_mov_b32_e32 v0, v46
	v_add_u32_e32 v49, 0xea, v29
	;; [unrolled: 8-line block ×4, first 2 shown]
	v_addc_co_u32_e64 v44, s[0:1], v53, v44, s[0:1]
	v_lshlrev_b64 v[45:46], 2, v[47:48]
	v_mad_u64_u32 v[47:48], s[0:1], s21, v51, v[0:1]
	v_mad_u64_u32 v[51:52], s[0:1], s20, v54, 0
	v_add_co_u32_e64 v45, s[0:1], v30, v45
	v_mov_b32_e32 v50, v47
	v_mov_b32_e32 v0, v52
	v_addc_co_u32_e64 v46, s[0:1], v53, v46, s[0:1]
	v_lshlrev_b64 v[47:48], 2, v[49:50]
	v_mad_u64_u32 v[49:50], s[0:1], s21, v54, v[0:1]
	v_add_co_u32_e64 v47, s[0:1], v30, v47
	v_mov_b32_e32 v52, v49
	v_lshlrev_b64 v[49:50], 2, v[51:52]
	v_addc_co_u32_e64 v48, s[0:1], v53, v48, s[0:1]
	v_add_co_u32_e64 v49, s[0:1], v30, v49
	v_addc_co_u32_e64 v50, s[0:1], v53, v50, s[0:1]
	global_load_dword v0, v[5:6], off
	global_load_dword v30, v[7:8], off
	global_load_dword v51, v[9:10], off
	global_load_dword v52, v[11:12], off
	global_load_dword v53, v[13:14], off
	global_load_dword v54, v[15:16], off
	global_load_dword v55, v[17:18], off
	global_load_dword v56, v[19:20], off
	global_load_dword v57, v[21:22], off
	global_load_dword v58, v[23:24], off
	global_load_dword v59, v[25:26], off
	global_load_dword v60, v[27:28], off
	global_load_dword v61, v[33:34], off
	global_load_dword v62, v[35:36], off
	global_load_dword v63, v[37:38], off
                                        ; kill: killed $vgpr21 killed $vgpr22
                                        ; kill: killed $vgpr11 killed $vgpr12
                                        ; kill: killed $vgpr25 killed $vgpr26
                                        ; kill: killed $vgpr15 killed $vgpr16
                                        ; kill: killed $vgpr19 killed $vgpr20
                                        ; kill: killed $vgpr33 killed $vgpr34
                                        ; kill: killed $vgpr5 killed $vgpr6
                                        ; kill: killed $vgpr9 killed $vgpr10
                                        ; kill: killed $vgpr37 killed $vgpr38
                                        ; kill: killed $vgpr23 killed $vgpr24
                                        ; kill: killed $vgpr13 killed $vgpr14
                                        ; kill: killed $vgpr27 killed $vgpr28
                                        ; kill: killed $vgpr17 killed $vgpr18
                                        ; kill: killed $vgpr7 killed $vgpr8
                                        ; kill: killed $vgpr35 killed $vgpr36
	global_load_dword v5, v[39:40], off
	global_load_dword v6, v[41:42], off
	;; [unrolled: 1-line block ×6, first 2 shown]
	v_lshlrev_b32_e32 v11, 2, v29
	v_add3_u32 v11, 0, v32, v11
	s_waitcnt vmcnt(19)
	ds_write2_b32 v11, v0, v30 offset1:13
	s_waitcnt vmcnt(17)
	ds_write2_b32 v11, v51, v52 offset0:26 offset1:39
	s_waitcnt vmcnt(15)
	ds_write2_b32 v11, v53, v54 offset0:52 offset1:65
	;; [unrolled: 2-line block ×9, first 2 shown]
	s_waitcnt vmcnt(0)
	ds_write_b32 v11, v10 offset:1040
.LBB0_13:
	s_or_b64 exec, exec, s[6:7]
	v_add_u32_e32 v0, 0, v32
	v_lshlrev_b32_e32 v5, 2, v29
	v_add_u32_e32 v33, v0, v5
	v_add_u32_e32 v5, 0, v5
	;; [unrolled: 1-line block ×3, first 2 shown]
	s_load_dwordx2 s[4:5], s[4:5], 0x0
	s_waitcnt lgkmcnt(0)
	; wave barrier
	s_waitcnt lgkmcnt(0)
	ds_read2_b32 v[5:6], v30 offset0:13 offset1:21
	ds_read2_b32 v[19:20], v30 offset0:34 offset1:42
	;; [unrolled: 1-line block ×9, first 2 shown]
	ds_read_b32 v34, v30 offset:1060
	ds_read_b32 v36, v33
	ds_read2_b32 v[23:24], v30 offset0:202 offset1:210
	ds_read2_b32 v[25:26], v30 offset0:223 offset1:231
	;; [unrolled: 1-line block ×3, first 2 shown]
	s_mov_b32 s23, 0xb770
	s_waitcnt lgkmcnt(3)
	v_pk_add_f16 v37, v36, v6
	v_pk_add_f16 v37, v37, v20
	;; [unrolled: 1-line block ×9, first 2 shown]
	s_waitcnt lgkmcnt(2)
	v_pk_add_f16 v37, v37, v24
	s_waitcnt lgkmcnt(1)
	v_pk_add_f16 v37, v37, v26
	;; [unrolled: 2-line block ×3, first 2 shown]
	v_pk_add_f16 v37, v28, v6
	v_pk_add_f16 v6, v6, v28 neg_lo:[0,1] neg_hi:[0,1]
	v_mul_f16_sdwa v28, v6, s23 dst_sel:DWORD dst_unused:UNUSED_PAD src0_sel:WORD_1 src1_sel:DWORD
	s_movk_i32 s9, 0x3b15
	v_fma_f16 v39, v37, s9, -v28
	v_fma_f16 v28, v37, s9, v28
	s_mov_b32 s26, 0x3b15388b
	v_add_f16_e32 v40, v36, v28
	v_pk_mul_f16 v28, v37, s26
	s_mov_b32 s27, 0xba95b770
	v_pk_fma_f16 v41, v6, s27, v28 op_sel:[0,0,1] op_sel_hi:[1,1,0] neg_lo:[1,0,0] neg_hi:[1,0,0]
	v_pk_fma_f16 v28, v6, s27, v28 op_sel:[0,0,1] op_sel_hi:[1,1,0]
	s_mov_b32 s8, 0xffff
	v_lshrrev_b32_e32 v43, 16, v37
	v_mul_f16_e32 v44, 0xba95, v6
	s_movk_i32 s14, 0x388b
	v_bfi_b32 v42, s8, v28, v41
	v_pk_add_f16 v46, v36, v28 op_sel:[1,0] op_sel_hi:[0,1]
	v_fma_f16 v28, v43, s14, -v44
	s_mov_b32 s25, 0xbbf1
	v_fma_f16 v45, v43, s14, v44
	v_add_f16_sdwa v44, v36, v28 dst_sel:DWORD dst_unused:UNUSED_PAD src0_sel:WORD_1 src1_sel:DWORD
	v_mul_f16_sdwa v28, v6, s25 dst_sel:DWORD dst_unused:UNUSED_PAD src0_sel:WORD_1 src1_sel:DWORD
	s_movk_i32 s15, 0x2fb7
	v_fma_f16 v47, v37, s15, -v28
	v_mul_f16_e32 v48, 0xbbf1, v6
	v_fma_f16 v28, v37, s15, v28
	v_add_f16_e32 v50, v36, v28
	v_fma_f16 v28, v43, s15, -v48
	s_mov_b32 s16, 0xbb7b
	v_fma_f16 v49, v43, s15, v48
	v_add_f16_sdwa v48, v36, v28 dst_sel:DWORD dst_unused:UNUSED_PAD src0_sel:WORD_1 src1_sel:DWORD
	v_mul_f16_sdwa v28, v6, s16 dst_sel:DWORD dst_unused:UNUSED_PAD src0_sel:WORD_1 src1_sel:DWORD
	s_mov_b32 s17, 0xb5ac
	v_fma_f16 v51, v37, s17, -v28
	v_mul_f16_e32 v52, 0xbb7b, v6
	v_fma_f16 v28, v37, s17, v28
	v_add_f16_e32 v54, v36, v28
	v_fma_f16 v28, v43, s17, -v52
	s_mov_b32 s18, 0xb94e
	v_fma_f16 v53, v43, s17, v52
	v_add_f16_sdwa v52, v36, v28 dst_sel:DWORD dst_unused:UNUSED_PAD src0_sel:WORD_1 src1_sel:DWORD
	v_mul_f16_sdwa v28, v6, s18 dst_sel:DWORD dst_unused:UNUSED_PAD src0_sel:WORD_1 src1_sel:DWORD
	s_mov_b32 s19, 0xb9fd
	v_fma_f16 v55, v37, s19, -v28
	v_mul_f16_e32 v56, 0xb94e, v6
	v_fma_f16 v28, v37, s19, v28
	v_add_f16_e32 v58, v36, v28
	v_fma_f16 v28, v43, s19, -v56
	s_mov_b32 s24, 0xba95
	v_fma_f16 v57, v43, s19, v56
	v_add_f16_sdwa v43, v36, v28 dst_sel:DWORD dst_unused:UNUSED_PAD src0_sel:WORD_1 src1_sel:DWORD
	v_pk_add_f16 v28, v26, v20
	v_pk_add_f16 v20, v20, v26 neg_lo:[0,1] neg_hi:[0,1]
	v_mul_f16_sdwa v26, v20, s24 dst_sel:DWORD dst_unused:UNUSED_PAD src0_sel:WORD_1 src1_sel:DWORD
	v_fma_f16 v56, v28, s14, -v26
	v_fma_f16 v26, v28, s14, v26
	s_mov_b32 s29, 0x388bb5ac
	v_add_f16_e32 v39, v36, v39
	v_add_f16_e32 v40, v26, v40
	v_pk_mul_f16 v26, v28, s29
	s_mov_b32 s30, 0xbb7bba95
	v_add_f16_e32 v39, v56, v39
	v_pk_fma_f16 v56, v20, s30, v26 op_sel:[0,0,1] op_sel_hi:[1,1,0] neg_lo:[1,0,0] neg_hi:[1,0,0]
	v_pk_fma_f16 v26, v20, s30, v26 op_sel:[0,0,1] op_sel_hi:[1,1,0]
	v_pk_add_f16 v42, v36, v42 op_sel:[1,0] op_sel_hi:[0,1]
	v_bfi_b32 v59, s8, v26, v56
	v_pk_add_f16 v42, v59, v42
	v_lshrrev_b32_e32 v59, 16, v28
	v_mul_f16_e32 v60, 0xbb7b, v20
	v_pk_add_f16 v46, v26, v46
	v_fma_f16 v26, v59, s17, -v60
	s_mov_b32 s20, 0xb3a8
	v_add_f16_e32 v44, v26, v44
	v_mul_f16_sdwa v26, v20, s20 dst_sel:DWORD dst_unused:UNUSED_PAD src0_sel:WORD_1 src1_sel:DWORD
	s_mov_b32 s22, 0xbbc4
	v_add_f16_e32 v47, v36, v47
	v_fma_f16 v61, v59, s17, v60
	v_fma_f16 v60, v28, s22, -v26
	v_add_f16_e32 v47, v60, v47
	v_mul_f16_e32 v60, 0xb3a8, v20
	v_fma_f16 v26, v28, s22, v26
	v_add_f16_e32 v50, v26, v50
	v_fma_f16 v26, v59, s22, -v60
	s_movk_i32 s34, 0x394e
	v_add_f16_sdwa v45, v36, v45 dst_sel:DWORD dst_unused:UNUSED_PAD src0_sel:WORD_1 src1_sel:DWORD
	v_add_f16_e32 v48, v26, v48
	v_mul_f16_sdwa v26, v20, s34 dst_sel:DWORD dst_unused:UNUSED_PAD src0_sel:WORD_1 src1_sel:DWORD
	v_add_f16_e32 v51, v36, v51
	v_add_f16_e32 v45, v61, v45
	v_fma_f16 v61, v59, s22, v60
	v_fma_f16 v60, v28, s19, -v26
	v_add_f16_e32 v51, v60, v51
	v_mul_f16_e32 v60, 0x394e, v20
	v_fma_f16 v26, v28, s19, v26
	v_add_f16_e32 v54, v26, v54
	v_fma_f16 v26, v59, s19, -v60
	s_movk_i32 s21, 0x3bf1
	v_add_f16_sdwa v49, v36, v49 dst_sel:DWORD dst_unused:UNUSED_PAD src0_sel:WORD_1 src1_sel:DWORD
	v_add_f16_e32 v52, v26, v52
	v_mul_f16_sdwa v26, v20, s21 dst_sel:DWORD dst_unused:UNUSED_PAD src0_sel:WORD_1 src1_sel:DWORD
	v_add_f16_e32 v55, v36, v55
	v_add_f16_e32 v49, v61, v49
	v_fma_f16 v61, v59, s19, v60
	v_fma_f16 v60, v28, s15, -v26
	v_add_f16_e32 v55, v60, v55
	v_mul_f16_e32 v60, 0x3bf1, v20
	v_fma_f16 v26, v28, s15, v26
	v_add_f16_e32 v58, v26, v58
	v_fma_f16 v26, v59, s15, -v60
	v_add_f16_e32 v43, v26, v43
	v_pk_add_f16 v26, v24, v18
	v_pk_add_f16 v18, v18, v24 neg_lo:[0,1] neg_hi:[0,1]
	v_add_f16_sdwa v53, v36, v53 dst_sel:DWORD dst_unused:UNUSED_PAD src0_sel:WORD_1 src1_sel:DWORD
	v_mul_f16_sdwa v24, v18, s25 dst_sel:DWORD dst_unused:UNUSED_PAD src0_sel:WORD_1 src1_sel:DWORD
	v_add_f16_e32 v53, v61, v53
	v_fma_f16 v61, v59, s15, v60
	v_fma_f16 v59, v26, s15, -v24
	v_fma_f16 v24, v26, s15, v24
	s_mov_b32 s31, 0x2fb7bbc4
	v_add_f16_e32 v40, v24, v40
	v_pk_mul_f16 v24, v26, s31
	s_mov_b32 s33, 0xb3a8bbf1
	v_add_f16_e32 v39, v59, v39
	v_pk_fma_f16 v59, v18, s33, v24 op_sel:[0,0,1] op_sel_hi:[1,1,0] neg_lo:[1,0,0] neg_hi:[1,0,0]
	v_pk_fma_f16 v24, v18, s33, v24 op_sel:[0,0,1] op_sel_hi:[1,1,0]
	v_add_f16_sdwa v57, v36, v57 dst_sel:DWORD dst_unused:UNUSED_PAD src0_sel:WORD_1 src1_sel:DWORD
	v_bfi_b32 v60, s8, v24, v59
	v_add_f16_e32 v57, v61, v57
	v_pk_add_f16 v42, v60, v42
	v_lshrrev_b32_e32 v60, 16, v26
	v_mul_f16_e32 v61, 0xb3a8, v18
	v_pk_add_f16 v46, v24, v46
	v_fma_f16 v24, v60, s22, -v61
	s_movk_i32 s35, 0x3b7b
	v_add_f16_e32 v44, v24, v44
	v_mul_f16_sdwa v24, v18, s35 dst_sel:DWORD dst_unused:UNUSED_PAD src0_sel:WORD_1 src1_sel:DWORD
	v_fma_f16 v62, v60, s22, v61
	v_fma_f16 v61, v26, s17, -v24
	v_add_f16_e32 v47, v61, v47
	v_mul_f16_e32 v61, 0x3b7b, v18
	v_fma_f16 v24, v26, s17, v24
	v_add_f16_e32 v50, v24, v50
	v_fma_f16 v24, v60, s17, -v61
	s_movk_i32 s28, 0x3770
	v_add_f16_e32 v48, v24, v48
	v_mul_f16_sdwa v24, v18, s28 dst_sel:DWORD dst_unused:UNUSED_PAD src0_sel:WORD_1 src1_sel:DWORD
	v_add_f16_e32 v45, v62, v45
	v_fma_f16 v62, v60, s17, v61
	v_fma_f16 v61, v26, s9, -v24
	v_add_f16_e32 v51, v61, v51
	v_mul_f16_e32 v61, 0x3770, v18
	v_fma_f16 v24, v26, s9, v24
	v_add_f16_e32 v54, v24, v54
	v_fma_f16 v24, v60, s9, -v61
	v_add_f16_e32 v52, v24, v52
	v_mul_f16_sdwa v24, v18, s24 dst_sel:DWORD dst_unused:UNUSED_PAD src0_sel:WORD_1 src1_sel:DWORD
	v_add_f16_e32 v49, v62, v49
	v_fma_f16 v62, v60, s9, v61
	v_fma_f16 v61, v26, s14, -v24
	v_add_f16_e32 v55, v61, v55
	v_mul_f16_e32 v61, 0xba95, v18
	v_fma_f16 v24, v26, s14, v24
	v_add_f16_e32 v58, v24, v58
	v_fma_f16 v24, v60, s14, -v61
	v_add_f16_e32 v43, v24, v43
	v_pk_add_f16 v24, v22, v14
	v_pk_add_f16 v22, v14, v22 neg_lo:[0,1] neg_hi:[0,1]
	v_mul_f16_sdwa v14, v22, s16 dst_sel:DWORD dst_unused:UNUSED_PAD src0_sel:WORD_1 src1_sel:DWORD
	v_add_f16_e32 v53, v62, v53
	v_fma_f16 v62, v60, s14, v61
	v_fma_f16 v60, v24, s17, -v14
	v_fma_f16 v14, v24, s17, v14
	s_mov_b32 s36, 0xb5acb9fd
	v_add_f16_e32 v40, v14, v40
	v_pk_mul_f16 v14, v24, s36
	s_mov_b32 s37, 0x394ebb7b
	v_pk_fma_f16 v61, v22, s37, v14 op_sel:[0,0,1] op_sel_hi:[1,1,0] neg_lo:[1,0,0] neg_hi:[1,0,0]
	v_pk_fma_f16 v14, v22, s37, v14 op_sel:[0,0,1] op_sel_hi:[1,1,0]
	v_add_f16_e32 v60, v60, v39
	v_bfi_b32 v39, s8, v14, v61
	v_add_f16_e32 v57, v62, v57
	v_pk_add_f16 v42, v39, v42
	v_lshrrev_b32_e32 v62, 16, v24
	v_mul_f16_e32 v39, 0x394e, v22
	v_fma_f16 v63, v62, s19, v39
	v_fma_f16 v39, v62, s19, -v39
	v_add_f16_e32 v44, v39, v44
	v_mul_f16_sdwa v39, v22, s28 dst_sel:DWORD dst_unused:UNUSED_PAD src0_sel:WORD_1 src1_sel:DWORD
	v_pk_add_f16 v14, v14, v46
	v_fma_f16 v46, v24, s9, -v39
	v_add_f16_e32 v46, v46, v47
	v_mul_f16_e32 v47, 0x3770, v22
	v_fma_f16 v39, v24, s9, v39
	v_add_f16_e32 v45, v63, v45
	v_fma_f16 v63, v62, s9, v47
	v_add_f16_e32 v50, v39, v50
	v_fma_f16 v39, v62, s9, -v47
	v_mul_f16_sdwa v47, v22, s25 dst_sel:DWORD dst_unused:UNUSED_PAD src0_sel:WORD_1 src1_sel:DWORD
	v_add_f16_e32 v39, v39, v48
	v_fma_f16 v48, v24, s15, -v47
	v_add_f16_e32 v48, v48, v51
	v_mul_f16_e32 v51, 0xbbf1, v22
	v_add_f16_e32 v49, v63, v49
	v_fma_f16 v63, v62, s15, v51
	v_fma_f16 v51, v62, s15, -v51
	s_movk_i32 s42, 0x33a8
	v_fma_f16 v47, v24, s15, v47
	v_add_f16_e32 v51, v51, v52
	v_mul_f16_sdwa v52, v22, s42 dst_sel:DWORD dst_unused:UNUSED_PAD src0_sel:WORD_1 src1_sel:DWORD
	v_add_f16_e32 v47, v47, v54
	v_fma_f16 v54, v24, s22, -v52
	v_add_f16_e32 v54, v54, v55
	v_mul_f16_e32 v55, 0x33a8, v22
	v_add_f16_e32 v53, v63, v53
	v_fma_f16 v63, v62, s22, v55
	v_fma_f16 v55, v62, s22, -v55
	v_add_f16_e32 v43, v55, v43
	v_pk_add_f16 v55, v16, v12
	v_pk_add_f16 v12, v12, v16 neg_lo:[0,1] neg_hi:[0,1]
	v_fma_f16 v52, v24, s22, v52
	v_mul_f16_sdwa v16, v12, s18 dst_sel:DWORD dst_unused:UNUSED_PAD src0_sel:WORD_1 src1_sel:DWORD
	v_add_f16_e32 v52, v52, v58
	v_fma_f16 v58, v55, s19, -v16
	v_fma_f16 v16, v55, s19, v16
	s_mov_b32 s39, 0xb9fd2fb7
	v_add_f16_e32 v16, v16, v40
	v_pk_mul_f16 v40, v55, s39
	s_mov_b32 s41, 0x3bf1b94e
	v_add_f16_e32 v58, v58, v60
	v_pk_fma_f16 v60, v12, s41, v40 op_sel:[0,0,1] op_sel_hi:[1,1,0] neg_lo:[1,0,0] neg_hi:[1,0,0]
	v_pk_fma_f16 v40, v12, s41, v40 op_sel:[0,0,1] op_sel_hi:[1,1,0]
	v_bfi_b32 v62, s8, v40, v60
	v_add_f16_e32 v57, v63, v57
	v_pk_add_f16 v42, v62, v42
	v_lshrrev_b32_e32 v62, 16, v55
	v_mul_f16_e32 v63, 0x3bf1, v12
	v_fma_f16 v64, v62, s15, v63
	v_fma_f16 v63, v62, s15, -v63
	v_add_f16_e32 v44, v63, v44
	v_mul_f16_sdwa v63, v12, s24 dst_sel:DWORD dst_unused:UNUSED_PAD src0_sel:WORD_1 src1_sel:DWORD
	v_add_f16_e32 v45, v64, v45
	v_fma_f16 v64, v55, s14, -v63
	v_add_f16_e32 v46, v64, v46
	v_mul_f16_e32 v64, 0xba95, v12
	v_fma_f16 v63, v55, s14, v63
	v_fma_f16 v65, v62, s14, v64
	v_add_f16_e32 v50, v63, v50
	v_fma_f16 v63, v62, s14, -v64
	v_mul_f16_sdwa v64, v12, s42 dst_sel:DWORD dst_unused:UNUSED_PAD src0_sel:WORD_1 src1_sel:DWORD
	v_add_f16_e32 v49, v65, v49
	v_fma_f16 v65, v55, s22, -v64
	v_add_f16_e32 v48, v65, v48
	v_mul_f16_e32 v65, 0x33a8, v12
	v_fma_f16 v64, v55, s22, v64
	v_add_f16_e32 v47, v64, v47
	v_fma_f16 v64, v62, s22, -v65
	v_add_f16_e32 v51, v64, v51
	v_mul_f16_sdwa v64, v12, s28 dst_sel:DWORD dst_unused:UNUSED_PAD src0_sel:WORD_1 src1_sel:DWORD
	v_fma_f16 v66, v62, s22, v65
	v_fma_f16 v65, v55, s9, -v64
	v_add_f16_e32 v54, v65, v54
	v_mul_f16_e32 v65, 0x3770, v12
	v_add_f16_e32 v53, v66, v53
	v_fma_f16 v66, v62, s9, v65
	v_fma_f16 v62, v62, s9, -v65
	v_add_f16_e32 v43, v62, v43
	v_pk_add_f16 v62, v8, v10
	v_pk_add_f16 v8, v10, v8 neg_lo:[0,1] neg_hi:[0,1]
	v_fma_f16 v64, v55, s9, v64
	v_mul_f16_sdwa v10, v8, s20 dst_sel:DWORD dst_unused:UNUSED_PAD src0_sel:WORD_1 src1_sel:DWORD
	v_add_f16_e32 v52, v64, v52
	v_fma_f16 v64, v62, s22, -v10
	v_fma_f16 v10, v62, s22, v10
	s_mov_b32 s43, 0xbbc43b15
	v_add_f16_e32 v10, v10, v16
	v_pk_mul_f16 v16, v62, s43
	s_mov_b32 s40, 0x3770b3a8
	v_add_f16_sdwa v41, v36, v41 dst_sel:DWORD dst_unused:UNUSED_PAD src0_sel:WORD_1 src1_sel:DWORD
	v_pk_fma_f16 v65, v8, s40, v16 op_sel:[0,0,1] op_sel_hi:[1,1,0] neg_lo:[1,0,0] neg_hi:[1,0,0]
	v_add_f16_e32 v41, v56, v41
	v_pk_fma_f16 v56, v8, s40, v16 op_sel:[0,0,1] op_sel_hi:[1,1,0]
	v_add_f16_e32 v41, v59, v41
	v_bfi_b32 v56, s8, v56, v65
	v_add_f16_e32 v41, v61, v41
	v_pk_add_f16 v42, v56, v42
	v_lshrrev_b32_e32 v56, 16, v62
	v_mul_f16_e32 v59, 0x3770, v8
	v_add_f16_e32 v41, v60, v41
	v_fma_f16 v60, v56, s9, v59
	v_fma_f16 v59, v56, s9, -v59
	v_add_f16_e32 v44, v59, v44
	v_mul_f16_sdwa v59, v8, s18 dst_sel:DWORD dst_unused:UNUSED_PAD src0_sel:WORD_1 src1_sel:DWORD
	v_add_f16_e32 v45, v60, v45
	v_fma_f16 v60, v62, s19, -v59
	v_add_f16_e32 v46, v60, v46
	v_mul_f16_e32 v60, 0xb9fd, v56
	v_fma_f16 v59, v62, s19, v59
	s_movk_i32 s38, 0x3a95
	v_add_f16_e32 v41, v65, v41
	v_fma_f16 v65, v8, s18, v60
	v_add_f16_e32 v50, v59, v50
	v_mul_f16_sdwa v59, v8, s38 dst_sel:DWORD dst_unused:UNUSED_PAD src0_sel:WORD_1 src1_sel:DWORD
	v_add_f16_e32 v49, v65, v49
	v_fma_f16 v65, v62, s14, -v59
	v_add_f16_e32 v48, v65, v48
	v_mul_f16_e32 v65, 0x3a95, v8
	v_fma_f16 v59, v62, s14, v59
	v_add_f16_e32 v47, v59, v47
	v_fma_f16 v59, v56, s14, -v65
	v_add_f16_e32 v51, v59, v51
	v_mul_f16_sdwa v59, v8, s16 dst_sel:DWORD dst_unused:UNUSED_PAD src0_sel:WORD_1 src1_sel:DWORD
	v_add_f16_e32 v57, v66, v57
	v_fma_f16 v66, v56, s14, v65
	v_fma_f16 v65, v62, s17, -v59
	v_add_f16_e32 v58, v64, v58
	v_add_f16_e32 v54, v65, v54
	v_mul_f16_e32 v65, 0xbb7b, v8
	v_mad_u32_u24 v35, v29, 52, v0
	v_add_f16_e32 v53, v66, v53
	v_fma_f16 v66, v56, s17, v65
	v_alignbit_b32 v45, v45, v42, 16
	v_pack_b32_f16 v42, v58, v42
	v_add_f16_e32 v57, v66, v57
	s_waitcnt lgkmcnt(0)
	; wave barrier
	ds_write2_b32 v35, v42, v45 offset0:1 offset1:2
	v_pack_b32_f16 v42, v48, v53
	v_pack_b32_f16 v45, v46, v49
	ds_write2_b32 v35, v45, v42 offset0:3 offset1:4
	v_pack_b32_f16 v42, v54, v57
	v_pk_mul_f16 v37, v37, s22 op_sel_hi:[1,0]
	ds_write2_b32 v35, v38, v42 offset1:5
	v_pk_fma_f16 v38, v6, s20, v37 op_sel:[0,0,1] op_sel_hi:[1,0,0] neg_lo:[1,0,0] neg_hi:[1,0,0]
	v_pk_fma_f16 v6, v6, s20, v37 op_sel:[0,0,1] op_sel_hi:[1,0,0]
	v_pk_mul_f16 v28, v28, s9 op_sel_hi:[1,0]
	v_pk_add_f16 v38, v36, v38 op_sel:[1,0] op_sel_hi:[0,1]
	v_pk_add_f16 v6, v36, v6 op_sel:[1,0] op_sel_hi:[0,1]
	v_pk_fma_f16 v36, v20, s28, v28 op_sel:[0,0,1] op_sel_hi:[1,0,0] neg_lo:[1,0,0] neg_hi:[1,0,0]
	v_pk_fma_f16 v20, v20, s28, v28 op_sel:[0,0,1] op_sel_hi:[1,0,0]
	v_pk_add_f16 v6, v20, v6
	v_pk_mul_f16 v20, v26, s19 op_sel_hi:[1,0]
	v_pk_fma_f16 v26, v18, s18, v20 op_sel:[0,0,1] op_sel_hi:[1,0,0] neg_lo:[1,0,0] neg_hi:[1,0,0]
	v_pk_fma_f16 v18, v18, s18, v20 op_sel:[0,0,1] op_sel_hi:[1,0,0]
	v_pk_add_f16 v6, v18, v6
	v_pk_mul_f16 v18, v24, s14 op_sel_hi:[1,0]
	v_pk_fma_f16 v20, v22, s38, v18 op_sel:[0,0,1] op_sel_hi:[1,0,0] neg_lo:[1,0,0] neg_hi:[1,0,0]
	v_pk_fma_f16 v18, v22, s38, v18 op_sel:[0,0,1] op_sel_hi:[1,0,0]
	v_pk_add_f16 v36, v36, v38
	v_pk_add_f16 v6, v18, v6
	v_pk_mul_f16 v18, v55, s17 op_sel_hi:[1,0]
	v_pk_add_f16 v26, v26, v36
	v_pk_fma_f16 v22, v12, s16, v18 op_sel:[0,0,1] op_sel_hi:[1,0,0] neg_lo:[1,0,0] neg_hi:[1,0,0]
	v_pk_fma_f16 v12, v12, s16, v18 op_sel:[0,0,1] op_sel_hi:[1,0,0]
	v_pk_add_f16 v20, v20, v26
	v_pk_add_f16 v6, v12, v6
	v_pk_mul_f16 v12, v62, s15 op_sel_hi:[1,0]
	v_pk_mul_f16 v64, v8, s40
	v_mul_f16_e32 v61, 0xb94e, v8
	v_pk_add_f16 v20, v22, v20
	v_pk_fma_f16 v18, v8, s21, v12 op_sel:[0,0,1] op_sel_hi:[1,0,0] neg_lo:[1,0,0] neg_hi:[1,0,0]
	v_pk_fma_f16 v8, v8, s21, v12 op_sel:[0,0,1] op_sel_hi:[1,0,0]
	v_fma_f16 v59, v62, s17, v59
	v_fma_f16 v56, v56, s17, -v65
	v_pk_add_f16 v18, v18, v20
	v_pk_add_f16 v6, v8, v6
	v_add_f16_e32 v52, v59, v52
	v_add_f16_e32 v43, v56, v43
	v_alignbit_b32 v8, v18, v6, 16
	v_alignbit_b32 v6, v6, v18, 16
	ds_write2_b32 v35, v6, v8 offset0:6 offset1:7
	v_pack_b32_f16 v6, v47, v51
	v_pack_b32_f16 v8, v52, v43
	ds_write2_b32 v35, v8, v6 offset0:8 offset1:9
	v_pack_b32_f16 v6, v63, v16
	v_bfi_b32 v8, s8, v39, v64
	v_pk_add_f16 v6, v6, v8
	v_bfi_b32 v8, s8, v61, v14
	v_pk_add_f16 v8, v60, v8 neg_lo:[0,1] neg_hi:[0,1]
	v_pk_add_f16 v12, v40, v14
	v_bfi_b32 v8, s8, v8, v12
	v_pk_add_f16 v6, v8, v6
	v_alignbit_b32 v8, v44, v6, 16
	v_pack_b32_f16 v6, v50, v6
	ds_write2_b32 v35, v6, v8 offset0:10 offset1:11
	v_pack_b32_f16 v6, v10, v41
	v_cmp_gt_u32_e64 s[0:1], 8, v29
	ds_write_b32 v35, v6 offset:48
	s_and_saveexec_b64 s[6:7], s[0:1]
	s_cbranch_execz .LBB0_15
; %bb.14:
	v_pk_add_f16 v6, v5, v19
	v_pk_add_f16 v6, v6, v17
	;; [unrolled: 1-line block ×7, first 2 shown]
	v_pk_add_f16 v8, v19, v34 neg_lo:[0,1] neg_hi:[0,1]
	v_pk_add_f16 v10, v34, v19
	v_pk_add_f16 v6, v6, v21
	v_pk_add_f16 v12, v17, v27 neg_lo:[0,1] neg_hi:[0,1]
	v_pk_add_f16 v14, v27, v17
	v_pk_add_f16 v19, v7, v15 neg_lo:[0,1] neg_hi:[0,1]
	v_pk_add_f16 v7, v15, v7
	v_mul_f16_e32 v15, 0xb94e, v8
	v_lshrrev_b32_e32 v20, 16, v10
	v_pk_add_f16 v6, v6, v23
	v_pk_add_f16 v17, v11, v23 neg_lo:[0,1] neg_hi:[0,1]
	v_pk_add_f16 v11, v23, v11
	v_pk_add_f16 v18, v9, v21 neg_lo:[0,1] neg_hi:[0,1]
	v_pk_add_f16 v9, v21, v9
	v_fma_f16 v21, v20, s19, v15
	v_mul_f16_e32 v22, 0x3bf1, v12
	v_lshrrev_b32_e32 v23, 16, v14
	v_pk_add_f16 v16, v13, v25 neg_lo:[0,1] neg_hi:[0,1]
	v_pk_add_f16 v13, v25, v13
	v_add_f16_sdwa v21, v5, v21 dst_sel:DWORD dst_unused:UNUSED_PAD src0_sel:WORD_1 src1_sel:DWORD
	v_fma_f16 v24, v23, s15, v22
	v_pk_add_f16 v6, v6, v25
	v_add_f16_e32 v21, v24, v21
	v_mul_f16_e32 v24, 0xba95, v16
	v_lshrrev_b32_e32 v25, 16, v13
	v_fma_f16 v26, v25, s14, v24
	v_pk_add_f16 v6, v6, v27
	v_add_f16_e32 v21, v26, v21
	v_mul_f16_e32 v26, 0x33a8, v17
	v_lshrrev_b32_e32 v27, 16, v11
	;; [unrolled: 5-line block ×3, first 2 shown]
	v_fma_f16 v35, v34, s9, v28
	v_add_f16_e32 v21, v35, v21
	v_mul_f16_e32 v35, 0xbb7b, v19
	v_lshrrev_b32_e32 v36, 16, v7
	v_fma_f16 v37, v36, s17, v35
	v_add_f16_e32 v21, v37, v21
	v_mul_f16_sdwa v37, v8, s18 dst_sel:DWORD dst_unused:UNUSED_PAD src0_sel:WORD_1 src1_sel:DWORD
	v_fma_f16 v38, v10, s19, -v37
	v_mul_f16_sdwa v39, v12, s21 dst_sel:DWORD dst_unused:UNUSED_PAD src0_sel:WORD_1 src1_sel:DWORD
	v_add_f16_e32 v38, v5, v38
	v_fma_f16 v40, v14, s15, -v39
	v_add_f16_e32 v38, v40, v38
	v_mul_f16_sdwa v40, v16, s24 dst_sel:DWORD dst_unused:UNUSED_PAD src0_sel:WORD_1 src1_sel:DWORD
	v_fma_f16 v41, v13, s14, -v40
	v_add_f16_e32 v38, v41, v38
	v_mul_f16_sdwa v41, v17, s42 dst_sel:DWORD dst_unused:UNUSED_PAD src0_sel:WORD_1 src1_sel:DWORD
	;; [unrolled: 3-line block ×4, first 2 shown]
	v_fma_f16 v44, v7, s17, -v43
	v_add_f16_e32 v38, v44, v38
	v_mul_f16_e32 v44, 0xbb7b, v8
	v_fma_f16 v45, v20, s17, v44
	v_mul_f16_e32 v46, 0x394e, v12
	v_add_f16_sdwa v45, v5, v45 dst_sel:DWORD dst_unused:UNUSED_PAD src0_sel:WORD_1 src1_sel:DWORD
	v_fma_f16 v47, v23, s19, v46
	v_add_f16_e32 v45, v47, v45
	v_mul_f16_e32 v47, 0x3770, v16
	v_fma_f16 v48, v25, s9, v47
	v_add_f16_e32 v45, v48, v45
	v_mul_f16_e32 v48, 0xbbf1, v17
	;; [unrolled: 3-line block ×4, first 2 shown]
	v_fma_f16 v51, v36, s14, v50
	v_add_f16_e32 v45, v51, v45
	v_mul_f16_sdwa v51, v8, s16 dst_sel:DWORD dst_unused:UNUSED_PAD src0_sel:WORD_1 src1_sel:DWORD
	v_fma_f16 v52, v10, s17, -v51
	v_mul_f16_sdwa v53, v12, s34 dst_sel:DWORD dst_unused:UNUSED_PAD src0_sel:WORD_1 src1_sel:DWORD
	v_add_f16_e32 v52, v5, v52
	v_fma_f16 v54, v14, s19, -v53
	v_add_f16_e32 v52, v54, v52
	v_mul_f16_sdwa v54, v16, s28 dst_sel:DWORD dst_unused:UNUSED_PAD src0_sel:WORD_1 src1_sel:DWORD
	v_fma_f16 v55, v13, s9, -v54
	v_add_f16_e32 v52, v55, v52
	v_mul_f16_sdwa v55, v17, s25 dst_sel:DWORD dst_unused:UNUSED_PAD src0_sel:WORD_1 src1_sel:DWORD
	;; [unrolled: 3-line block ×4, first 2 shown]
	v_fma_f16 v58, v7, s14, -v57
	v_add_f16_e32 v52, v58, v52
	v_mul_f16_e32 v58, 0xbbf1, v8
	v_fma_f16 v59, v20, s15, v58
	v_mul_f16_e32 v60, 0xb3a8, v12
	v_add_f16_sdwa v59, v5, v59 dst_sel:DWORD dst_unused:UNUSED_PAD src0_sel:WORD_1 src1_sel:DWORD
	v_fma_f16 v61, v23, s22, v60
	v_add_f16_e32 v59, v61, v59
	v_mul_f16_e32 v61, 0x3b7b, v16
	v_fma_f16 v62, v25, s17, v61
	v_add_f16_e32 v59, v62, v59
	v_mul_f16_e32 v62, 0x3770, v17
	;; [unrolled: 3-line block ×4, first 2 shown]
	v_fma_f16 v65, v19, s18, v64
	v_add_f16_e32 v59, v65, v59
	v_mul_f16_sdwa v65, v8, s25 dst_sel:DWORD dst_unused:UNUSED_PAD src0_sel:WORD_1 src1_sel:DWORD
	v_fma_f16 v66, v10, s15, -v65
	v_mul_f16_sdwa v67, v12, s20 dst_sel:DWORD dst_unused:UNUSED_PAD src0_sel:WORD_1 src1_sel:DWORD
	v_add_f16_e32 v66, v5, v66
	v_fma_f16 v68, v14, s22, -v67
	v_add_f16_e32 v66, v68, v66
	v_mul_f16_sdwa v68, v16, s35 dst_sel:DWORD dst_unused:UNUSED_PAD src0_sel:WORD_1 src1_sel:DWORD
	v_fma_f16 v69, v13, s17, -v68
	v_add_f16_e32 v66, v69, v66
	v_mul_f16_sdwa v69, v17, s28 dst_sel:DWORD dst_unused:UNUSED_PAD src0_sel:WORD_1 src1_sel:DWORD
	;; [unrolled: 3-line block ×4, first 2 shown]
	v_fma_f16 v72, v7, s19, -v71
	v_add_f16_e32 v66, v72, v66
	v_mul_f16_e32 v72, 0xba95, v8
	v_fma_f16 v73, v20, s14, v72
	v_mul_f16_e32 v74, 0xbb7b, v12
	v_add_f16_sdwa v73, v5, v73 dst_sel:DWORD dst_unused:UNUSED_PAD src0_sel:WORD_1 src1_sel:DWORD
	v_fma_f16 v75, v23, s17, v74
	v_add_f16_e32 v73, v75, v73
	v_mul_f16_e32 v75, 0xb3a8, v16
	v_fma_f16 v76, v25, s22, v75
	v_add_f16_e32 v73, v76, v73
	v_mul_f16_e32 v76, 0x394e, v17
	v_fma_f16 v77, v27, s19, v76
	v_fma_f16 v15, v20, s19, -v15
	v_add_f16_e32 v73, v77, v73
	v_mul_f16_e32 v77, 0x3bf1, v18
	v_add_f16_sdwa v15, v5, v15 dst_sel:DWORD dst_unused:UNUSED_PAD src0_sel:WORD_1 src1_sel:DWORD
	v_fma_f16 v22, v23, s15, -v22
	v_fma_f16 v78, v34, s15, v77
	v_add_f16_e32 v15, v22, v15
	v_fma_f16 v22, v25, s14, -v24
	v_add_f16_e32 v73, v78, v73
	v_mul_f16_e32 v78, 0x3770, v19
	v_add_f16_e32 v15, v22, v15
	v_fma_f16 v22, v27, s22, -v26
	v_fma_f16 v79, v36, s9, v78
	v_add_f16_e32 v15, v22, v15
	v_fma_f16 v22, v34, s9, -v28
	v_add_f16_e32 v73, v79, v73
	v_pk_mul_f16 v79, v10, s26
	v_add_f16_e32 v15, v22, v15
	v_fma_f16 v22, v36, s17, -v35
	v_pk_fma_f16 v80, v8, s27, v79 op_sel:[0,0,1] op_sel_hi:[1,1,0]
	v_pk_fma_f16 v79, v8, s27, v79 op_sel:[0,0,1] op_sel_hi:[1,1,0] neg_lo:[1,0,0] neg_hi:[1,0,0]
	v_pk_mul_f16 v82, v14, s29
	v_add_f16_e32 v15, v22, v15
	v_fma_f16 v22, v10, s19, v37
	v_bfi_b32 v81, s8, v80, v79
	v_pk_fma_f16 v83, v12, s30, v82 op_sel:[0,0,1] op_sel_hi:[1,1,0]
	v_pk_fma_f16 v82, v12, s30, v82 op_sel:[0,0,1] op_sel_hi:[1,1,0] neg_lo:[1,0,0] neg_hi:[1,0,0]
	v_add_f16_e32 v22, v5, v22
	v_fma_f16 v24, v14, s15, v39
	v_pk_add_f16 v81, v5, v81 op_sel:[1,0] op_sel_hi:[0,1]
	v_bfi_b32 v84, s8, v83, v82
	v_add_f16_e32 v22, v24, v22
	v_fma_f16 v24, v13, s14, v40
	v_pk_add_f16 v81, v84, v81
	v_pk_mul_f16 v84, v13, s31
	v_add_f16_e32 v22, v24, v22
	v_fma_f16 v24, v11, s22, v41
	v_pk_fma_f16 v85, v16, s33, v84 op_sel:[0,0,1] op_sel_hi:[1,1,0]
	v_pk_fma_f16 v84, v16, s33, v84 op_sel:[0,0,1] op_sel_hi:[1,1,0] neg_lo:[1,0,0] neg_hi:[1,0,0]
	v_add_f16_e32 v22, v24, v22
	v_fma_f16 v24, v9, s9, v42
	v_bfi_b32 v86, s8, v85, v84
	v_add_f16_e32 v22, v24, v22
	v_fma_f16 v24, v7, s17, v43
	v_pk_add_f16 v81, v86, v81
	v_pk_mul_f16 v86, v11, s36
	v_add_f16_e32 v22, v24, v22
	v_fma_f16 v24, v20, s17, -v44
	v_pk_fma_f16 v87, v17, s37, v86 op_sel:[0,0,1] op_sel_hi:[1,1,0]
	v_pk_fma_f16 v86, v17, s37, v86 op_sel:[0,0,1] op_sel_hi:[1,1,0] neg_lo:[1,0,0] neg_hi:[1,0,0]
	v_add_f16_sdwa v24, v5, v24 dst_sel:DWORD dst_unused:UNUSED_PAD src0_sel:WORD_1 src1_sel:DWORD
	v_fma_f16 v26, v23, s19, -v46
	v_bfi_b32 v88, s8, v87, v86
	v_add_f16_e32 v24, v26, v24
	v_fma_f16 v26, v25, s9, -v47
	v_pk_add_f16 v81, v88, v81
	v_pk_mul_f16 v88, v9, s39
	v_add_f16_e32 v24, v26, v24
	v_fma_f16 v26, v27, s15, -v48
	v_pk_fma_f16 v89, v18, s41, v88 op_sel:[0,0,1] op_sel_hi:[1,1,0]
	v_pk_fma_f16 v88, v18, s41, v88 op_sel:[0,0,1] op_sel_hi:[1,1,0] neg_lo:[1,0,0] neg_hi:[1,0,0]
	v_add_f16_e32 v24, v26, v24
	v_fma_f16 v26, v34, s22, -v49
	v_bfi_b32 v90, s8, v89, v88
	v_add_f16_e32 v24, v26, v24
	v_fma_f16 v26, v36, s14, -v50
	v_pk_add_f16 v81, v90, v81
	v_pk_mul_f16 v90, v7, s43
	v_add_f16_e32 v24, v26, v24
	v_fma_f16 v26, v10, s17, v51
	v_pk_fma_f16 v91, v19, s40, v90 op_sel:[0,0,1] op_sel_hi:[1,1,0]
	v_pk_fma_f16 v92, v19, s40, v90 op_sel:[0,0,1] op_sel_hi:[1,1,0] neg_lo:[1,0,0] neg_hi:[1,0,0]
	v_add_f16_e32 v26, v5, v26
	v_fma_f16 v28, v14, s19, v53
	v_bfi_b32 v91, s8, v91, v92
	v_add_f16_e32 v26, v28, v26
	v_fma_f16 v28, v13, s9, v54
	v_pk_add_f16 v81, v91, v81
	v_mul_f16_sdwa v91, v8, s23 dst_sel:DWORD dst_unused:UNUSED_PAD src0_sel:WORD_1 src1_sel:DWORD
	v_add_f16_e32 v26, v28, v26
	v_fma_f16 v28, v11, s15, v55
	v_fma_f16 v93, v10, s9, -v91
	v_mul_f16_sdwa v94, v12, s24 dst_sel:DWORD dst_unused:UNUSED_PAD src0_sel:WORD_1 src1_sel:DWORD
	v_add_f16_e32 v26, v28, v26
	v_fma_f16 v28, v9, s22, v56
	v_fma_f16 v35, v20, s15, -v58
	v_fma_f16 v20, v20, s14, -v72
	v_add_f16_e32 v93, v5, v93
	v_fma_f16 v95, v14, s14, -v94
	v_add_f16_e32 v26, v28, v26
	v_fma_f16 v28, v7, s14, v57
	v_fma_f16 v37, v23, s22, -v60
	v_add_f16_sdwa v20, v5, v20 dst_sel:DWORD dst_unused:UNUSED_PAD src0_sel:WORD_1 src1_sel:DWORD
	v_fma_f16 v23, v23, s17, -v74
	v_add_f16_e32 v93, v95, v93
	v_mul_f16_sdwa v95, v16, s25 dst_sel:DWORD dst_unused:UNUSED_PAD src0_sel:WORD_1 src1_sel:DWORD
	v_add_f16_e32 v26, v28, v26
	v_mul_i32_i24_e32 v28, 52, v31
	v_add_f16_sdwa v35, v5, v35 dst_sel:DWORD dst_unused:UNUSED_PAD src0_sel:WORD_1 src1_sel:DWORD
	v_add_f16_e32 v20, v23, v20
	v_fma_f16 v23, v25, s22, -v75
	v_fma_f16 v96, v13, s15, -v95
	v_add3_u32 v28, 0, v28, v32
	v_add_f16_e32 v35, v37, v35
	v_fma_f16 v39, v25, s17, -v61
	v_add_f16_e32 v20, v23, v20
	v_fma_f16 v23, v27, s19, -v76
	v_pack_b32_f16 v21, v38, v21
	v_add_f16_e32 v93, v96, v93
	v_mul_f16_sdwa v96, v17, s16 dst_sel:DWORD dst_unused:UNUSED_PAD src0_sel:WORD_1 src1_sel:DWORD
	v_add_f16_e32 v35, v39, v35
	v_fma_f16 v40, v27, s9, -v62
	v_fma_f16 v41, v10, s15, v65
	v_add_f16_e32 v20, v23, v20
	v_fma_f16 v23, v34, s15, -v77
	v_fma_f16 v27, v10, s9, v91
	ds_write2_b32 v28, v6, v21 offset1:5
	v_pk_mul_f16 v6, v10, s22 op_sel_hi:[1,0]
	v_fma_f16 v97, v11, s17, -v96
	v_add_f16_e32 v35, v40, v35
	v_fma_f16 v40, v34, s14, -v63
	v_add_f16_e32 v41, v5, v41
	v_fma_f16 v42, v14, s22, v67
	v_add_f16_e32 v20, v23, v20
	v_fma_f16 v23, v36, s9, -v78
	v_add_f16_e32 v27, v5, v27
	v_fma_f16 v34, v14, s14, v94
	v_pk_fma_f16 v10, v8, s20, v6 op_sel:[0,0,1] op_sel_hi:[1,0,0] neg_lo:[1,0,0] neg_hi:[1,0,0]
	v_pk_mul_f16 v14, v14, s9 op_sel_hi:[1,0]
	v_pk_fma_f16 v6, v8, s20, v6 op_sel:[0,0,1] op_sel_hi:[1,0,0]
	v_add_f16_e32 v93, v97, v93
	v_mul_f16_sdwa v97, v18, s18 dst_sel:DWORD dst_unused:UNUSED_PAD src0_sel:WORD_1 src1_sel:DWORD
	v_add_f16_e32 v41, v42, v41
	v_fma_f16 v42, v13, s17, v68
	v_add_f16_e32 v20, v23, v20
	v_pk_add_f16 v23, v5, v80 op_sel:[1,0] op_sel_hi:[0,1]
	v_add_f16_sdwa v25, v5, v79 dst_sel:DWORD dst_unused:UNUSED_PAD src0_sel:WORD_1 src1_sel:DWORD
	v_add_f16_e32 v27, v34, v27
	v_fma_f16 v34, v13, s15, v95
	v_pk_add_f16 v10, v5, v10 op_sel:[1,0] op_sel_hi:[0,1]
	v_pk_fma_f16 v21, v12, s28, v14 op_sel:[0,0,1] op_sel_hi:[1,0,0] neg_lo:[1,0,0] neg_hi:[1,0,0]
	v_pk_mul_f16 v13, v13, s19 op_sel_hi:[1,0]
	v_pk_add_f16 v5, v5, v6 op_sel:[1,0] op_sel_hi:[0,1]
	v_pk_fma_f16 v6, v12, s28, v14 op_sel:[0,0,1] op_sel_hi:[1,0,0]
	v_fma_f16 v98, v9, s19, -v97
	v_add_f16_e32 v41, v42, v41
	v_fma_f16 v42, v11, s9, v69
	v_add_f16_e32 v27, v34, v27
	v_fma_f16 v34, v11, s17, v96
	v_pk_add_f16 v10, v21, v10
	v_pk_fma_f16 v21, v16, s18, v13 op_sel:[0,0,1] op_sel_hi:[1,0,0] neg_lo:[1,0,0] neg_hi:[1,0,0]
	v_pk_mul_f16 v11, v11, s14 op_sel_hi:[1,0]
	v_pk_add_f16 v5, v6, v5
	v_pk_fma_f16 v6, v16, s18, v13 op_sel:[0,0,1] op_sel_hi:[1,0,0]
	v_add_f16_e32 v93, v98, v93
	v_mul_f16_sdwa v98, v19, s20 dst_sel:DWORD dst_unused:UNUSED_PAD src0_sel:WORD_1 src1_sel:DWORD
	v_add_f16_e32 v41, v42, v41
	v_fma_f16 v42, v9, s14, v70
	v_add_f16_e32 v27, v34, v27
	v_fma_f16 v34, v9, s19, v97
	v_pk_add_f16 v10, v21, v10
	v_pk_fma_f16 v21, v17, s38, v11 op_sel:[0,0,1] op_sel_hi:[1,0,0] neg_lo:[1,0,0] neg_hi:[1,0,0]
	v_pk_mul_f16 v9, v9, s17 op_sel_hi:[1,0]
	v_pk_add_f16 v5, v6, v5
	v_pk_fma_f16 v6, v17, s38, v11 op_sel:[0,0,1] op_sel_hi:[1,0,0]
	v_fma_f16 v99, v7, s22, -v98
	v_add_f16_e32 v41, v42, v41
	v_fma_f16 v42, v7, s19, v71
	v_add_f16_e32 v27, v34, v27
	v_fma_f16 v34, v7, s22, v98
	v_pk_add_f16 v10, v21, v10
	v_pk_fma_f16 v21, v18, s16, v9 op_sel:[0,0,1] op_sel_hi:[1,0,0] neg_lo:[1,0,0] neg_hi:[1,0,0]
	v_pk_mul_f16 v7, v7, s15 op_sel_hi:[1,0]
	v_pk_add_f16 v5, v6, v5
	v_pk_fma_f16 v6, v18, s16, v9 op_sel:[0,0,1] op_sel_hi:[1,0,0]
	v_pk_add_f16 v10, v21, v10
	v_pk_fma_f16 v21, v19, s21, v7 op_sel:[0,0,1] op_sel_hi:[1,0,0] neg_lo:[1,0,0] neg_hi:[1,0,0]
	v_pk_add_f16 v5, v6, v5
	v_pk_fma_f16 v6, v19, s21, v7 op_sel:[0,0,1] op_sel_hi:[1,0,0]
	v_pk_add_f16 v23, v83, v23
	v_pk_add_f16 v10, v21, v10
	;; [unrolled: 1-line block ×4, first 2 shown]
	v_alignbit_b32 v6, v10, v5, 16
	v_alignbit_b32 v5, v5, v10, 16
	v_mul_f16_e32 v37, 0xb94e, v19
	v_pk_add_f16 v23, v87, v23
	ds_write2_b32 v28, v5, v6 offset0:6 offset1:7
	v_pack_b32_f16 v5, v26, v24
	v_pack_b32_f16 v6, v22, v15
	ds_write2_b32 v28, v6, v5 offset0:8 offset1:9
	v_bfi_b32 v5, s8, v37, v23
	v_pk_mul_f16 v39, v19, s40
	v_add_f16_e32 v25, v82, v25
	v_pk_add_f16 v5, v64, v5 neg_lo:[0,1] neg_hi:[0,1]
	v_pk_add_f16 v6, v89, v23
	v_add_f16_e32 v25, v84, v25
	v_bfi_b32 v5, s8, v5, v6
	v_pack_b32_f16 v6, v40, v90
	v_bfi_b32 v7, s8, v35, v39
	v_add_f16_e32 v25, v86, v25
	v_pk_add_f16 v6, v6, v7
	v_add_f16_e32 v93, v99, v93
	v_add_f16_e32 v41, v42, v41
	;; [unrolled: 1-line block ×3, first 2 shown]
	v_pk_add_f16 v5, v5, v6
	v_add_f16_e32 v25, v92, v25
	v_add_f16_e32 v27, v34, v27
	v_alignbit_b32 v34, v73, v81, 16
	v_pack_b32_f16 v36, v93, v81
	v_alignbit_b32 v6, v20, v5, 16
	v_pack_b32_f16 v5, v41, v5
	ds_write2_b32 v28, v36, v34 offset0:1 offset1:2
	v_pack_b32_f16 v34, v52, v45
	v_pack_b32_f16 v36, v66, v59
	ds_write2_b32 v28, v5, v6 offset0:10 offset1:11
	v_pack_b32_f16 v5, v27, v25
	ds_write2_b32 v28, v36, v34 offset0:3 offset1:4
	ds_write_b32 v28, v5 offset:48
.LBB0_15:
	s_or_b64 exec, exec, s[6:7]
	v_lshlrev_b32_e32 v10, 1, v29
	v_mov_b32_e32 v11, 0
	v_lshlrev_b64 v[5:6], 2, v[10:11]
	v_mov_b32_e32 v28, s13
	v_add_co_u32_e64 v5, s[0:1], s12, v5
	v_addc_co_u32_e64 v6, s[0:1], v28, v6, s[0:1]
	s_waitcnt lgkmcnt(0)
	; wave barrier
	s_waitcnt lgkmcnt(0)
	global_load_dwordx2 v[6:7], v[5:6], off
	v_add_u16_e32 v5, 26, v29
	s_movk_i32 s0, 0x4f
	v_mul_lo_u16_sdwa v8, v5, s0 dst_sel:DWORD dst_unused:UNUSED_PAD src0_sel:BYTE_0 src1_sel:DWORD
	v_lshrrev_b16_e32 v8, 10, v8
	v_mul_lo_u16_e32 v8, 13, v8
	v_mov_b32_e32 v10, 3
	v_sub_u16_e32 v44, v5, v8
	v_lshlrev_b32_sdwa v5, v10, v44 dst_sel:DWORD dst_unused:UNUSED_PAD src0_sel:DWORD src1_sel:BYTE_0
	global_load_dwordx2 v[8:9], v5, s[12:13]
	v_add_u16_e32 v5, 39, v29
	v_mul_lo_u16_sdwa v12, v5, s0 dst_sel:DWORD dst_unused:UNUSED_PAD src0_sel:BYTE_0 src1_sel:DWORD
	v_lshrrev_b16_e32 v12, 10, v12
	v_mul_lo_u16_e32 v12, 13, v12
	v_sub_u16_e32 v46, v5, v12
	v_lshlrev_b32_sdwa v5, v10, v46 dst_sel:DWORD dst_unused:UNUSED_PAD src0_sel:DWORD src1_sel:BYTE_0
	global_load_dwordx2 v[12:13], v5, s[12:13]
	v_add_u16_e32 v5, 52, v29
	v_mul_lo_u16_sdwa v16, v5, s0 dst_sel:DWORD dst_unused:UNUSED_PAD src0_sel:BYTE_0 src1_sel:DWORD
	v_lshrrev_b16_e32 v16, 10, v16
	v_mul_lo_u16_e32 v16, 13, v16
	;; [unrolled: 7-line block ×3, first 2 shown]
	v_sub_u16_e32 v48, v5, v20
	v_add_u16_e32 v22, 0x4e, v29
	v_lshlrev_b32_sdwa v5, v10, v48 dst_sel:DWORD dst_unused:UNUSED_PAD src0_sel:DWORD src1_sel:BYTE_0
	v_mul_lo_u16_sdwa v23, v22, s0 dst_sel:DWORD dst_unused:UNUSED_PAD src0_sel:BYTE_0 src1_sel:DWORD
	global_load_dwordx2 v[20:21], v5, s[12:13]
	v_lshrrev_b16_e32 v23, 10, v23
	v_mul_lo_u16_e32 v23, 13, v23
	v_sub_u16_e32 v49, v22, v23
	v_lshlrev_b32_sdwa v10, v10, v49 dst_sel:DWORD dst_unused:UNUSED_PAD src0_sel:DWORD src1_sel:BYTE_0
	global_load_dwordx2 v[22:23], v10, s[12:13]
	ds_read2_b32 v[14:15], v30 offset0:78 offset1:91
	ds_read2_b32 v[18:19], v30 offset0:182 offset1:195
	ds_read_b32 v45, v33
	ds_read2_b32 v[24:25], v30 offset0:104 offset1:117
	ds_read2_b32 v[26:27], v30 offset0:26 offset1:39
	;; [unrolled: 1-line block ×7, first 2 shown]
	s_waitcnt lgkmcnt(6)
	v_lshrrev_b32_e32 v53, 16, v24
	v_lshrrev_b32_e32 v69, 16, v15
	;; [unrolled: 1-line block ×5, first 2 shown]
	s_waitcnt lgkmcnt(4)
	v_lshrrev_b32_e32 v57, 16, v34
	s_waitcnt lgkmcnt(3)
	v_lshrrev_b32_e32 v59, 16, v36
	v_lshrrev_b32_e32 v60, 16, v35
	;; [unrolled: 1-line block ×3, first 2 shown]
	s_waitcnt lgkmcnt(1)
	v_lshrrev_b32_e32 v63, 16, v40
	v_lshlrev_b32_e32 v5, 2, v31
	v_add3_u32 v5, 0, v5, v32
	s_waitcnt lgkmcnt(0)
	v_lshrrev_b32_e32 v65, 16, v42
	ds_read_b32 v10, v5
	ds_read_b32 v50, v30 offset:1040
	v_lshrrev_b32_e32 v66, 16, v41
	v_lshrrev_b32_e32 v68, 16, v43
	;; [unrolled: 1-line block ×3, first 2 shown]
	s_movk_i32 s0, 0x3aee
	s_waitcnt lgkmcnt(0)
	v_lshrrev_b32_e32 v71, 16, v50
	s_mov_b32 s1, 0xbaee
	v_lshrrev_b32_e32 v70, 16, v10
	v_lshrrev_b32_e32 v55, 16, v26
	;; [unrolled: 1-line block ×6, first 2 shown]
	s_waitcnt lgkmcnt(0)
	; wave barrier
	s_mov_b32 s6, 0xbcab
	s_movk_i32 s7, 0x39e0
	s_mov_b32 s8, 0xb9e0
	s_movk_i32 s9, 0x3574
	s_waitcnt vmcnt(5)
	v_mul_f16_sdwa v72, v6, v69 dst_sel:DWORD dst_unused:UNUSED_PAD src0_sel:WORD_1 src1_sel:DWORD
	v_mul_f16_sdwa v73, v6, v15 dst_sel:DWORD dst_unused:UNUSED_PAD src0_sel:WORD_1 src1_sel:DWORD
	v_fma_f16 v15, v6, v15, -v72
	v_mul_f16_sdwa v72, v52, v7 dst_sel:DWORD dst_unused:UNUSED_PAD src0_sel:DWORD src1_sel:WORD_1
	v_fma_f16 v72, v18, v7, -v72
	v_mul_f16_sdwa v18, v18, v7 dst_sel:DWORD dst_unused:UNUSED_PAD src0_sel:DWORD src1_sel:WORD_1
	v_fma_f16 v18, v52, v7, v18
	v_mul_f16_sdwa v52, v53, v6 dst_sel:DWORD dst_unused:UNUSED_PAD src0_sel:DWORD src1_sel:WORD_1
	v_fma_f16 v52, v24, v6, -v52
	v_mul_f16_sdwa v24, v24, v6 dst_sel:DWORD dst_unused:UNUSED_PAD src0_sel:DWORD src1_sel:WORD_1
	v_fma_f16 v69, v6, v69, v73
	v_fma_f16 v6, v53, v6, v24
	v_mul_f16_sdwa v24, v54, v7 dst_sel:DWORD dst_unused:UNUSED_PAD src0_sel:DWORD src1_sel:WORD_1
	v_fma_f16 v24, v19, v7, -v24
	v_mul_f16_sdwa v19, v19, v7 dst_sel:DWORD dst_unused:UNUSED_PAD src0_sel:DWORD src1_sel:WORD_1
	v_fma_f16 v7, v54, v7, v19
	s_waitcnt vmcnt(4)
	v_mul_f16_sdwa v19, v56, v8 dst_sel:DWORD dst_unused:UNUSED_PAD src0_sel:DWORD src1_sel:WORD_1
	v_fma_f16 v19, v25, v8, -v19
	v_mul_f16_sdwa v25, v25, v8 dst_sel:DWORD dst_unused:UNUSED_PAD src0_sel:DWORD src1_sel:WORD_1
	v_fma_f16 v8, v56, v8, v25
	v_mul_f16_sdwa v25, v57, v9 dst_sel:DWORD dst_unused:UNUSED_PAD src0_sel:DWORD src1_sel:WORD_1
	v_fma_f16 v25, v34, v9, -v25
	v_mul_f16_sdwa v34, v34, v9 dst_sel:DWORD dst_unused:UNUSED_PAD src0_sel:DWORD src1_sel:WORD_1
	v_fma_f16 v9, v57, v9, v34
	s_waitcnt vmcnt(3)
	v_mul_f16_sdwa v34, v59, v12 dst_sel:DWORD dst_unused:UNUSED_PAD src0_sel:DWORD src1_sel:WORD_1
	v_fma_f16 v34, v36, v12, -v34
	v_mul_f16_sdwa v36, v36, v12 dst_sel:DWORD dst_unused:UNUSED_PAD src0_sel:DWORD src1_sel:WORD_1
	;; [unrolled: 9-line block ×5, first 2 shown]
	v_fma_f16 v22, v68, v22, v43
	v_mul_f16_sdwa v43, v71, v23 dst_sel:DWORD dst_unused:UNUSED_PAD src0_sel:DWORD src1_sel:WORD_1
	v_fma_f16 v43, v50, v23, -v43
	v_mul_f16_sdwa v50, v50, v23 dst_sel:DWORD dst_unused:UNUSED_PAD src0_sel:DWORD src1_sel:WORD_1
	v_add_f16_e32 v53, v15, v72
	v_fma_f16 v23, v71, v23, v50
	v_add_f16_e32 v50, v45, v15
	v_fma_f16 v45, v53, -0.5, v45
	v_sub_f16_e32 v53, v69, v18
	v_fma_f16 v54, v53, s0, v45
	v_fma_f16 v45, v53, s1, v45
	v_add_f16_e32 v53, v51, v69
	v_add_f16_e32 v53, v53, v18
	;; [unrolled: 1-line block ×3, first 2 shown]
	v_fma_f16 v18, v18, -0.5, v51
	v_sub_f16_e32 v15, v15, v72
	v_add_f16_e32 v56, v52, v24
	v_fma_f16 v51, v15, s1, v18
	v_fma_f16 v15, v15, s0, v18
	v_add_f16_e32 v18, v10, v52
	v_fma_f16 v10, v56, -0.5, v10
	v_sub_f16_e32 v56, v6, v7
	v_fma_f16 v57, v56, s0, v10
	v_fma_f16 v10, v56, s1, v10
	v_add_f16_e32 v56, v70, v6
	v_add_f16_e32 v6, v6, v7
	;; [unrolled: 1-line block ×3, first 2 shown]
	v_fma_f16 v6, v6, -0.5, v70
	v_sub_f16_e32 v7, v52, v24
	v_add_f16_e32 v52, v19, v25
	v_add_f16_e32 v18, v18, v24
	v_fma_f16 v24, v7, s1, v6
	v_fma_f16 v6, v7, s0, v6
	v_add_f16_e32 v7, v26, v19
	v_fma_f16 v26, v52, -0.5, v26
	v_sub_f16_e32 v52, v8, v9
	v_fma_f16 v59, v52, s0, v26
	v_fma_f16 v26, v52, s1, v26
	v_add_f16_e32 v52, v55, v8
	v_add_f16_e32 v8, v8, v9
	v_add_f16_e32 v7, v7, v25
	v_add_f16_e32 v52, v52, v9
	v_fma_f16 v8, v8, -0.5, v55
	v_sub_f16_e32 v9, v19, v25
	v_add_f16_e32 v25, v34, v36
	v_fma_f16 v19, v9, s1, v8
	v_fma_f16 v8, v9, s0, v8
	v_add_f16_e32 v9, v27, v34
	v_fma_f16 v25, v25, -0.5, v27
	v_sub_f16_e32 v27, v12, v13
	v_fma_f16 v55, v27, s0, v25
	v_fma_f16 v25, v27, s1, v25
	v_add_f16_e32 v27, v58, v12
	v_add_f16_e32 v12, v12, v13
	v_add_f16_e32 v9, v9, v36
	v_add_f16_e32 v27, v27, v13
	v_fma_f16 v12, v12, -0.5, v58
	v_sub_f16_e32 v13, v34, v36
	;; [unrolled: 14-line block ×4, first 2 shown]
	v_add_f16_e32 v42, v41, v43
	v_pack_b32_f16 v15, v45, v15
	v_pack_b32_f16 v18, v18, v56
	v_fma_f16 v40, v21, s1, v20
	v_fma_f16 v20, v21, s0, v20
	v_add_f16_e32 v21, v14, v41
	v_fma_f16 v14, v42, -0.5, v14
	v_sub_f16_e32 v42, v22, v23
	ds_write2_b32 v30, v15, v18 offset0:26 offset1:39
	v_pack_b32_f16 v15, v57, v24
	v_pack_b32_f16 v6, v10, v6
	v_fma_f16 v61, v42, s0, v14
	v_fma_f16 v14, v42, s1, v14
	v_add_f16_e32 v42, v67, v22
	v_add_f16_e32 v22, v22, v23
	ds_write2_b32 v30, v15, v6 offset0:52 offset1:65
	v_mov_b32_e32 v6, 2
	v_add_f16_e32 v50, v50, v72
	v_add_f16_e32 v42, v42, v23
	v_fma_f16 v22, v22, -0.5, v67
	v_sub_f16_e32 v23, v41, v43
	v_lshlrev_b32_sdwa v10, v6, v44 dst_sel:DWORD dst_unused:UNUSED_PAD src0_sel:DWORD src1_sel:BYTE_0
	v_add_f16_e32 v21, v21, v43
	v_fma_f16 v41, v23, s1, v22
	v_fma_f16 v22, v23, s0, v22
	v_pack_b32_f16 v23, v50, v53
	v_pack_b32_f16 v43, v54, v51
	v_add3_u32 v10, 0, v10, v32
	v_pack_b32_f16 v7, v7, v52
	v_pack_b32_f16 v15, v59, v19
	ds_write2_b32 v30, v23, v43 offset1:13
	ds_write2_b32 v10, v7, v15 offset0:78 offset1:91
	v_pack_b32_f16 v7, v26, v8
	ds_write_b32 v10, v7 offset:416
	v_lshlrev_b32_sdwa v7, v6, v46 dst_sel:DWORD dst_unused:UNUSED_PAD src0_sel:DWORD src1_sel:BYTE_0
	v_add3_u32 v7, 0, v7, v32
	v_pack_b32_f16 v8, v9, v27
	v_pack_b32_f16 v9, v55, v34
	ds_write2_b32 v7, v8, v9 offset0:117 offset1:130
	v_pack_b32_f16 v8, v25, v12
	ds_write_b32 v7, v8 offset:572
	v_lshlrev_b32_sdwa v7, v6, v47 dst_sel:DWORD dst_unused:UNUSED_PAD src0_sel:DWORD src1_sel:BYTE_0
	v_add3_u32 v7, 0, v7, v32
	v_pack_b32_f16 v8, v13, v38
	v_pack_b32_f16 v9, v58, v35
	;; [unrolled: 7-line block ×3, first 2 shown]
	ds_write2_b32 v7, v8, v9 offset0:195 offset1:208
	v_pack_b32_f16 v8, v37, v20
	v_lshlrev_b32_sdwa v6, v6, v49 dst_sel:DWORD dst_unused:UNUSED_PAD src0_sel:DWORD src1_sel:BYTE_0
	ds_write_b32 v7, v8 offset:884
	v_add3_u32 v6, 0, v6, v32
	v_pack_b32_f16 v7, v21, v42
	v_pack_b32_f16 v8, v61, v41
	ds_write2_b32 v6, v7, v8 offset0:234 offset1:247
	v_pack_b32_f16 v7, v14, v22
	ds_write_b32 v6, v7 offset:1040
	v_mul_u32_u24_e32 v6, 6, v29
	v_lshlrev_b32_e32 v43, 2, v6
	s_waitcnt lgkmcnt(0)
	; wave barrier
	s_waitcnt lgkmcnt(0)
	global_load_dwordx4 v[6:9], v43, s[12:13] offset:104
	global_load_dwordx2 v[18:19], v43, s[12:13] offset:120
	v_mul_i32_i24_e32 v10, 6, v31
	v_lshlrev_b64 v[10:11], 2, v[10:11]
	v_add_co_u32_e64 v20, s[0:1], s12, v10
	v_addc_co_u32_e64 v21, s[0:1], v28, v11, s[0:1]
	global_load_dwordx4 v[10:13], v[20:21], off offset:104
	global_load_dwordx2 v[22:23], v[20:21], off offset:120
	global_load_dwordx4 v[14:17], v43, s[12:13] offset:728
	ds_read_b32 v28, v33
	ds_read2_b32 v[20:21], v30 offset0:26 offset1:39
	ds_read2_b32 v[24:25], v30 offset0:78 offset1:91
	;; [unrolled: 1-line block ×7, first 2 shown]
	global_load_dwordx2 v[43:44], v43, s[12:13] offset:744
	s_waitcnt lgkmcnt(6)
	v_lshrrev_b32_e32 v61, 16, v21
	s_waitcnt lgkmcnt(4)
	v_lshrrev_b32_e32 v45, 16, v27
	;; [unrolled: 2-line block ×3, first 2 shown]
	ds_read2_b32 v[39:40], v30 offset0:130 offset1:143
	s_waitcnt lgkmcnt(2)
	v_lshrrev_b32_e32 v47, 16, v35
	ds_read2_b32 v[41:42], v30 offset0:208 offset1:221
	v_lshrrev_b32_e32 v48, 16, v25
	s_waitcnt lgkmcnt(2)
	v_lshrrev_b32_e32 v50, 16, v38
	s_waitcnt lgkmcnt(1)
	v_lshrrev_b32_e32 v49, 16, v39
	v_lshrrev_b32_e32 v52, 16, v34
	s_waitcnt lgkmcnt(0)
	v_lshrrev_b32_e32 v51, 16, v41
	v_lshrrev_b32_e32 v53, 16, v36
	;; [unrolled: 1-line block ×3, first 2 shown]
	ds_read_b32 v54, v5
	ds_read_b32 v55, v30 offset:1040
	v_lshrrev_b32_e32 v57, 16, v40
	v_lshrrev_b32_e32 v58, 16, v26
	;; [unrolled: 1-line block ×3, first 2 shown]
	s_movk_i32 s0, 0x2b26
	s_waitcnt lgkmcnt(0)
	v_lshrrev_b32_e32 v60, 16, v55
	s_movk_i32 s1, 0x3b00
	s_mov_b32 s12, 0xb574
	s_movk_i32 s13, 0x370e
	s_waitcnt lgkmcnt(0)
	; wave barrier
	s_waitcnt vmcnt(5)
	v_mul_f16_sdwa v62, v6, v61 dst_sel:DWORD dst_unused:UNUSED_PAD src0_sel:WORD_1 src1_sel:DWORD
	v_fma_f16 v62, v6, v21, -v62
	v_mul_f16_sdwa v21, v6, v21 dst_sel:DWORD dst_unused:UNUSED_PAD src0_sel:WORD_1 src1_sel:DWORD
	v_fma_f16 v6, v6, v61, v21
	v_lshrrev_b32_e32 v21, 16, v24
	v_mul_f16_sdwa v61, v7, v21 dst_sel:DWORD dst_unused:UNUSED_PAD src0_sel:WORD_1 src1_sel:DWORD
	v_fma_f16 v61, v7, v24, -v61
	v_mul_f16_sdwa v24, v7, v24 dst_sel:DWORD dst_unused:UNUSED_PAD src0_sel:WORD_1 src1_sel:DWORD
	v_fma_f16 v7, v7, v21, v24
	v_lshrrev_b32_e32 v21, 16, v32
	;; [unrolled: 5-line block ×3, first 2 shown]
	v_mul_f16_sdwa v32, v9, v21 dst_sel:DWORD dst_unused:UNUSED_PAD src0_sel:WORD_1 src1_sel:DWORD
	v_fma_f16 v32, v9, v37, -v32
	v_mul_f16_sdwa v37, v9, v37 dst_sel:DWORD dst_unused:UNUSED_PAD src0_sel:WORD_1 src1_sel:DWORD
	v_fma_f16 v9, v9, v21, v37
	s_waitcnt vmcnt(4)
	v_mul_f16_sdwa v21, v45, v18 dst_sel:DWORD dst_unused:UNUSED_PAD src0_sel:DWORD src1_sel:WORD_1
	v_fma_f16 v21, v27, v18, -v21
	v_mul_f16_sdwa v27, v27, v18 dst_sel:DWORD dst_unused:UNUSED_PAD src0_sel:DWORD src1_sel:WORD_1
	v_fma_f16 v18, v45, v18, v27
	v_mul_f16_sdwa v27, v46, v19 dst_sel:DWORD dst_unused:UNUSED_PAD src0_sel:DWORD src1_sel:WORD_1
	v_fma_f16 v27, v33, v19, -v27
	v_mul_f16_sdwa v33, v33, v19 dst_sel:DWORD dst_unused:UNUSED_PAD src0_sel:DWORD src1_sel:WORD_1
	v_fma_f16 v19, v46, v19, v33
	s_waitcnt vmcnt(3)
	v_mul_f16_sdwa v33, v47, v10 dst_sel:DWORD dst_unused:UNUSED_PAD src0_sel:DWORD src1_sel:WORD_1
	v_fma_f16 v33, v35, v10, -v33
	v_mul_f16_sdwa v35, v35, v10 dst_sel:DWORD dst_unused:UNUSED_PAD src0_sel:DWORD src1_sel:WORD_1
	v_fma_f16 v10, v47, v10, v35
	v_mul_f16_sdwa v35, v48, v11 dst_sel:DWORD dst_unused:UNUSED_PAD src0_sel:DWORD src1_sel:WORD_1
	v_fma_f16 v35, v25, v11, -v35
	v_mul_f16_sdwa v25, v25, v11 dst_sel:DWORD dst_unused:UNUSED_PAD src0_sel:DWORD src1_sel:WORD_1
	v_fma_f16 v11, v48, v11, v25
	v_mul_f16_sdwa v25, v49, v12 dst_sel:DWORD dst_unused:UNUSED_PAD src0_sel:DWORD src1_sel:WORD_1
	v_mul_f16_sdwa v37, v39, v12 dst_sel:DWORD dst_unused:UNUSED_PAD src0_sel:DWORD src1_sel:WORD_1
	v_fma_f16 v25, v39, v12, -v25
	v_fma_f16 v12, v49, v12, v37
	v_mul_f16_sdwa v37, v50, v13 dst_sel:DWORD dst_unused:UNUSED_PAD src0_sel:DWORD src1_sel:WORD_1
	v_fma_f16 v37, v38, v13, -v37
	v_mul_f16_sdwa v38, v38, v13 dst_sel:DWORD dst_unused:UNUSED_PAD src0_sel:DWORD src1_sel:WORD_1
	v_fma_f16 v13, v50, v13, v38
	s_waitcnt vmcnt(2)
	v_mul_f16_sdwa v38, v51, v22 dst_sel:DWORD dst_unused:UNUSED_PAD src0_sel:DWORD src1_sel:WORD_1
	v_mul_f16_sdwa v39, v41, v22 dst_sel:DWORD dst_unused:UNUSED_PAD src0_sel:DWORD src1_sel:WORD_1
	v_fma_f16 v38, v41, v22, -v38
	v_fma_f16 v22, v51, v22, v39
	v_mul_f16_sdwa v39, v52, v23 dst_sel:DWORD dst_unused:UNUSED_PAD src0_sel:DWORD src1_sel:WORD_1
	v_fma_f16 v39, v34, v23, -v39
	v_mul_f16_sdwa v34, v34, v23 dst_sel:DWORD dst_unused:UNUSED_PAD src0_sel:DWORD src1_sel:WORD_1
	v_fma_f16 v23, v52, v23, v34
	s_waitcnt vmcnt(1)
	v_mul_f16_sdwa v34, v53, v14 dst_sel:DWORD dst_unused:UNUSED_PAD src0_sel:DWORD src1_sel:WORD_1
	v_fma_f16 v34, v36, v14, -v34
	v_mul_f16_sdwa v36, v36, v14 dst_sel:DWORD dst_unused:UNUSED_PAD src0_sel:DWORD src1_sel:WORD_1
	v_fma_f16 v14, v53, v14, v36
	v_mul_f16_sdwa v36, v56, v15 dst_sel:DWORD dst_unused:UNUSED_PAD src0_sel:DWORD src1_sel:WORD_1
	v_fma_f16 v36, v31, v15, -v36
	v_mul_f16_sdwa v31, v31, v15 dst_sel:DWORD dst_unused:UNUSED_PAD src0_sel:DWORD src1_sel:WORD_1
	v_fma_f16 v15, v56, v15, v31
	;; [unrolled: 4-line block ×4, first 2 shown]
	s_waitcnt vmcnt(0)
	v_mul_f16_sdwa v26, v59, v43 dst_sel:DWORD dst_unused:UNUSED_PAD src0_sel:DWORD src1_sel:WORD_1
	v_mul_f16_sdwa v41, v42, v43 dst_sel:DWORD dst_unused:UNUSED_PAD src0_sel:DWORD src1_sel:WORD_1
	v_fma_f16 v26, v42, v43, -v26
	v_fma_f16 v41, v59, v43, v41
	v_mul_f16_sdwa v42, v60, v44 dst_sel:DWORD dst_unused:UNUSED_PAD src0_sel:DWORD src1_sel:WORD_1
	v_mul_f16_sdwa v43, v55, v44 dst_sel:DWORD dst_unused:UNUSED_PAD src0_sel:DWORD src1_sel:WORD_1
	v_fma_f16 v42, v55, v44, -v42
	v_fma_f16 v43, v60, v44, v43
	v_add_f16_e32 v44, v62, v27
	v_add_f16_e32 v45, v6, v19
	v_sub_f16_e32 v6, v6, v19
	v_add_f16_e32 v19, v61, v21
	v_add_f16_e32 v46, v7, v18
	v_sub_f16_e32 v27, v62, v27
	v_sub_f16_e32 v21, v61, v21
	;; [unrolled: 1-line block ×3, first 2 shown]
	v_add_f16_e32 v18, v24, v32
	v_add_f16_e32 v47, v8, v9
	v_sub_f16_e32 v24, v32, v24
	v_sub_f16_e32 v8, v9, v8
	v_add_f16_e32 v9, v19, v44
	v_add_f16_e32 v32, v46, v45
	v_sub_f16_e32 v48, v19, v44
	v_sub_f16_e32 v49, v46, v45
	;; [unrolled: 1-line block ×6, first 2 shown]
	v_add_f16_e32 v50, v24, v21
	v_add_f16_e32 v51, v8, v7
	v_sub_f16_e32 v52, v24, v21
	v_sub_f16_e32 v53, v8, v7
	;; [unrolled: 1-line block ×4, first 2 shown]
	v_add_f16_e32 v9, v18, v9
	v_add_f16_e32 v18, v47, v32
	v_sub_f16_e32 v24, v27, v24
	v_sub_f16_e32 v8, v6, v8
	v_add_f16_e32 v27, v50, v27
	v_add_f16_e32 v6, v51, v6
	v_add_f16_e32 v32, v9, v28
	v_add_f16_sdwa v28, v18, v28 dst_sel:DWORD dst_unused:UNUSED_PAD src0_sel:DWORD src1_sel:WORD_1
	v_mul_f16_e32 v44, 0x3a52, v44
	v_mul_f16_e32 v45, 0x3a52, v45
	;; [unrolled: 1-line block ×8, first 2 shown]
	v_fma_f16 v9, v9, s6, v32
	v_fma_f16 v18, v18, s6, v28
	;; [unrolled: 1-line block ×4, first 2 shown]
	v_fma_f16 v47, v48, s7, -v47
	v_fma_f16 v50, v49, s7, -v50
	;; [unrolled: 1-line block ×4, first 2 shown]
	v_fma_f16 v48, v24, s9, v51
	v_fma_f16 v49, v8, s9, v52
	v_fma_f16 v7, v7, s1, -v52
	v_fma_f16 v24, v24, s12, -v53
	;; [unrolled: 1-line block ×4, first 2 shown]
	v_add_f16_e32 v19, v19, v9
	v_add_f16_e32 v46, v46, v18
	;; [unrolled: 1-line block ×6, first 2 shown]
	v_fma_f16 v44, v27, s13, v48
	v_fma_f16 v45, v6, s13, v49
	;; [unrolled: 1-line block ×6, first 2 shown]
	v_add_f16_e32 v8, v45, v19
	v_sub_f16_e32 v27, v46, v44
	v_add_f16_e32 v48, v6, v9
	v_sub_f16_e32 v49, v18, v24
	v_sub_f16_e32 v6, v9, v6
	v_add_f16_e32 v9, v24, v18
	v_sub_f16_e32 v18, v19, v45
	v_add_f16_e32 v19, v44, v46
	v_add_f16_e32 v24, v33, v39
	;; [unrolled: 1-line block ×3, first 2 shown]
	v_sub_f16_e32 v33, v33, v39
	v_sub_f16_e32 v10, v10, v23
	v_add_f16_e32 v23, v35, v38
	v_add_f16_e32 v39, v11, v22
	v_sub_f16_e32 v35, v35, v38
	v_sub_f16_e32 v11, v11, v22
	v_add_f16_e32 v22, v25, v37
	v_add_f16_e32 v38, v12, v13
	;; [unrolled: 4-line block ×3, first 2 shown]
	v_sub_f16_e32 v51, v47, v7
	v_add_f16_e32 v52, v21, v50
	v_add_f16_e32 v7, v7, v47
	v_sub_f16_e32 v21, v50, v21
	v_sub_f16_e32 v45, v23, v24
	;; [unrolled: 1-line block ×7, first 2 shown]
	v_add_f16_e32 v47, v25, v35
	v_add_f16_e32 v50, v12, v11
	v_sub_f16_e32 v53, v25, v35
	v_sub_f16_e32 v55, v12, v11
	;; [unrolled: 1-line block ×4, first 2 shown]
	v_add_f16_e32 v13, v22, v13
	v_add_f16_e32 v22, v38, v37
	v_sub_f16_e32 v25, v33, v25
	v_sub_f16_e32 v12, v10, v12
	v_add_f16_e32 v33, v47, v33
	v_add_f16_e32 v10, v50, v10
	v_add_f16_e32 v37, v13, v54
	v_add_f16_sdwa v38, v22, v54 dst_sel:DWORD dst_unused:UNUSED_PAD src0_sel:DWORD src1_sel:WORD_1
	v_mul_f16_e32 v24, 0x3a52, v24
	v_mul_f16_e32 v44, 0x3a52, v44
	;; [unrolled: 1-line block ×8, first 2 shown]
	v_fma_f16 v13, v13, s6, v37
	v_fma_f16 v22, v22, s6, v38
	;; [unrolled: 1-line block ×4, first 2 shown]
	v_fma_f16 v47, v45, s7, -v47
	v_fma_f16 v50, v46, s7, -v50
	;; [unrolled: 1-line block ×4, first 2 shown]
	v_fma_f16 v45, v25, s9, v53
	v_fma_f16 v46, v12, s9, v54
	v_fma_f16 v11, v11, s1, -v54
	v_fma_f16 v25, v25, s12, -v55
	;; [unrolled: 1-line block ×4, first 2 shown]
	v_add_f16_e32 v23, v23, v13
	v_add_f16_e32 v39, v39, v22
	;; [unrolled: 1-line block ×6, first 2 shown]
	v_fma_f16 v24, v33, s13, v45
	v_fma_f16 v44, v10, s13, v46
	;; [unrolled: 1-line block ×6, first 2 shown]
	v_add_f16_e32 v12, v44, v23
	v_sub_f16_e32 v33, v39, v24
	v_add_f16_e32 v45, v10, v13
	v_sub_f16_e32 v46, v22, v25
	v_sub_f16_e32 v10, v13, v10
	v_add_f16_e32 v13, v25, v22
	v_sub_f16_e32 v22, v23, v44
	v_add_f16_e32 v23, v24, v39
	v_add_f16_e32 v24, v34, v42
	;; [unrolled: 1-line block ×3, first 2 shown]
	v_sub_f16_e32 v34, v34, v42
	v_add_f16_e32 v39, v36, v26
	v_add_f16_e32 v42, v15, v41
	v_pack_b32_f16 v8, v8, v27
	v_pack_b32_f16 v6, v6, v9
	v_sub_f16_e32 v26, v36, v26
	v_sub_f16_e32 v15, v15, v41
	v_add_f16_e32 v36, v31, v40
	v_add_f16_e32 v41, v16, v17
	v_sub_f16_e32 v31, v40, v31
	v_sub_f16_e32 v16, v17, v16
	v_add_f16_e32 v17, v39, v24
	v_add_f16_e32 v40, v42, v25
	ds_write_b32 v30, v8 offset:156
	v_pack_b32_f16 v8, v48, v49
	v_pack_b32_f16 v7, v7, v21
	ds_write_b32 v30, v6 offset:780
	v_pack_b32_f16 v6, v18, v19
	v_sub_f16_e32 v53, v47, v11
	v_add_f16_e32 v54, v35, v50
	v_add_f16_e32 v11, v11, v47
	v_sub_f16_e32 v35, v50, v35
	v_sub_f16_e32 v14, v14, v43
	;; [unrolled: 1-line block ×8, first 2 shown]
	v_add_f16_e32 v47, v31, v26
	v_add_f16_e32 v50, v16, v15
	v_sub_f16_e32 v55, v31, v26
	v_sub_f16_e32 v56, v16, v15
	v_add_f16_e32 v17, v36, v17
	v_add_f16_e32 v36, v41, v40
	v_pack_b32_f16 v28, v32, v28
	ds_write_b32 v30, v8 offset:312
	v_pack_b32_f16 v8, v51, v52
	ds_write_b32 v30, v7 offset:624
	ds_write_b32 v30, v6 offset:936
	v_pack_b32_f16 v6, v37, v38
	v_pack_b32_f16 v7, v12, v33
	v_sub_f16_e32 v31, v34, v31
	v_sub_f16_e32 v16, v14, v16
	;; [unrolled: 1-line block ×4, first 2 shown]
	v_add_f16_e32 v34, v47, v34
	v_add_f16_e32 v14, v50, v14
	;; [unrolled: 1-line block ×3, first 2 shown]
	v_add_f16_sdwa v20, v36, v20 dst_sel:DWORD dst_unused:UNUSED_PAD src0_sel:DWORD src1_sel:WORD_1
	v_mul_f16_e32 v24, 0x3a52, v24
	v_mul_f16_e32 v25, 0x3a52, v25
	;; [unrolled: 1-line block ×6, first 2 shown]
	ds_write_b32 v30, v28
	ds_write_b32 v30, v8 offset:468
	ds_write2_b32 v5, v6, v7 offset1:39
	v_pack_b32_f16 v6, v45, v46
	v_pack_b32_f16 v7, v53, v54
	v_mul_f16_e32 v56, 0x3b00, v26
	v_mul_f16_e32 v57, 0x3b00, v15
	v_fma_f16 v17, v17, s6, v40
	v_fma_f16 v36, v36, s6, v20
	;; [unrolled: 1-line block ×4, first 2 shown]
	v_fma_f16 v41, v43, s7, -v41
	v_fma_f16 v47, v44, s7, -v47
	;; [unrolled: 1-line block ×4, first 2 shown]
	v_fma_f16 v43, v31, s9, v50
	v_fma_f16 v44, v16, s9, v55
	ds_write2_b32 v5, v6, v7 offset0:78 offset1:117
	v_pack_b32_f16 v6, v11, v35
	v_pack_b32_f16 v7, v10, v13
	v_fma_f16 v26, v26, s1, -v50
	v_fma_f16 v15, v15, s1, -v55
	;; [unrolled: 1-line block ×4, first 2 shown]
	v_add_f16_e32 v39, v39, v17
	v_add_f16_e32 v42, v42, v36
	v_add_f16_e32 v41, v41, v17
	v_add_f16_e32 v47, v47, v36
	v_add_f16_e32 v17, v24, v17
	v_add_f16_e32 v24, v25, v36
	v_fma_f16 v25, v34, s13, v43
	v_fma_f16 v36, v14, s13, v44
	ds_write2_b32 v5, v6, v7 offset0:156 offset1:195
	v_pack_b32_f16 v6, v22, v23
	v_fma_f16 v26, v34, s13, v26
	v_fma_f16 v15, v14, s13, v15
	;; [unrolled: 1-line block ×4, first 2 shown]
	v_add_f16_e32 v16, v36, v39
	v_sub_f16_e32 v34, v42, v25
	ds_write_b32 v5, v6 offset:936
	v_pack_b32_f16 v5, v40, v20
	v_add_f16_e32 v43, v14, v17
	v_sub_f16_e32 v44, v24, v31
	ds_write_b32 v30, v5 offset:104
	v_pack_b32_f16 v5, v16, v34
	v_sub_f16_e32 v50, v41, v15
	v_add_f16_e32 v55, v26, v47
	ds_write_b32 v30, v5 offset:260
	v_pack_b32_f16 v5, v43, v44
	v_add_f16_e32 v15, v15, v41
	v_sub_f16_e32 v26, v47, v26
	ds_write_b32 v30, v5 offset:416
	v_pack_b32_f16 v5, v50, v55
	v_sub_f16_e32 v14, v17, v14
	v_add_f16_e32 v17, v31, v24
	ds_write_b32 v30, v5 offset:572
	v_pack_b32_f16 v5, v15, v26
	v_sub_f16_e32 v24, v39, v36
	v_add_f16_e32 v25, v25, v42
	ds_write_b32 v30, v5 offset:728
	v_pack_b32_f16 v5, v14, v17
	ds_write_b32 v30, v5 offset:884
	v_pack_b32_f16 v5, v24, v25
	ds_write_b32 v30, v5 offset:1040
	s_waitcnt lgkmcnt(0)
	; wave barrier
	s_waitcnt lgkmcnt(0)
	s_and_saveexec_b64 s[0:1], vcc
	s_cbranch_execz .LBB0_17
; %bb.16:
	v_mul_lo_u32 v8, s5, v3
	v_mul_lo_u32 v9, s4, v4
	v_mad_u64_u32 v[3:4], s[0:1], s4, v3, 0
	v_mad_u64_u32 v[5:6], s[0:1], s2, v29, 0
	v_add3_u32 v4, v4, v9, v8
	v_lshlrev_b64 v[3:4], 2, v[3:4]
	v_mad_u64_u32 v[6:7], s[0:1], s3, v29, v[6:7]
	v_lshl_add_u32 v9, v29, 2, v0
	v_mov_b32_e32 v0, s11
	v_add_co_u32_e32 v3, vcc, s10, v3
	v_addc_co_u32_e32 v4, vcc, v0, v4, vcc
	v_lshlrev_b64 v[0:1], 2, v[1:2]
	v_add_u32_e32 v12, 26, v29
	v_add_co_u32_e32 v10, vcc, v3, v0
	v_addc_co_u32_e32 v11, vcc, v4, v1, vcc
	v_lshlrev_b64 v[0:1], 2, v[5:6]
	v_add_u32_e32 v6, 13, v29
	ds_read2_b32 v[4:5], v9 offset1:13
	v_mad_u64_u32 v[2:3], s[0:1], s2, v6, 0
	v_add_co_u32_e32 v0, vcc, v10, v0
	s_waitcnt lgkmcnt(0)
	v_mad_u64_u32 v[6:7], s[0:1], s3, v6, v[3:4]
	v_mad_u64_u32 v[7:8], s[0:1], s2, v12, 0
	v_addc_co_u32_e32 v1, vcc, v11, v1, vcc
	v_mov_b32_e32 v3, v6
	global_store_dword v[0:1], v4, off
	v_lshlrev_b64 v[0:1], 2, v[2:3]
	v_mov_b32_e32 v2, v8
	v_add_co_u32_e32 v0, vcc, v10, v0
	v_mad_u64_u32 v[2:3], s[0:1], s3, v12, v[2:3]
	v_addc_co_u32_e32 v1, vcc, v11, v1, vcc
	v_add_u32_e32 v6, 39, v29
	global_store_dword v[0:1], v5, off
	v_mad_u64_u32 v[4:5], s[0:1], s2, v6, 0
	v_mov_b32_e32 v8, v2
	ds_read2_b32 v[0:1], v9 offset0:26 offset1:39
	v_lshlrev_b64 v[2:3], 2, v[7:8]
	v_mad_u64_u32 v[5:6], s[0:1], s3, v6, v[5:6]
	v_add_u32_e32 v8, 52, v29
	v_mad_u64_u32 v[6:7], s[0:1], s2, v8, 0
	v_add_co_u32_e32 v2, vcc, v10, v2
	v_addc_co_u32_e32 v3, vcc, v11, v3, vcc
	s_waitcnt lgkmcnt(0)
	global_store_dword v[2:3], v0, off
	v_mov_b32_e32 v0, v7
	v_lshlrev_b64 v[2:3], 2, v[4:5]
	v_mad_u64_u32 v[4:5], s[0:1], s3, v8, v[0:1]
	v_add_co_u32_e32 v2, vcc, v10, v2
	v_addc_co_u32_e32 v3, vcc, v11, v3, vcc
	v_mov_b32_e32 v7, v4
	global_store_dword v[2:3], v1, off
	v_lshlrev_b64 v[2:3], 2, v[6:7]
	v_add_u32_e32 v6, 0x41, v29
	v_mad_u64_u32 v[4:5], s[0:1], s2, v6, 0
	ds_read2_b32 v[0:1], v9 offset0:52 offset1:65
	v_add_u32_e32 v8, 0x4e, v29
	v_mad_u64_u32 v[5:6], s[0:1], s3, v6, v[5:6]
	v_mad_u64_u32 v[6:7], s[0:1], s2, v8, 0
	v_add_co_u32_e32 v2, vcc, v10, v2
	v_addc_co_u32_e32 v3, vcc, v11, v3, vcc
	s_waitcnt lgkmcnt(0)
	global_store_dword v[2:3], v0, off
	v_mov_b32_e32 v0, v7
	v_lshlrev_b64 v[2:3], 2, v[4:5]
	v_mad_u64_u32 v[4:5], s[0:1], s3, v8, v[0:1]
	v_add_co_u32_e32 v2, vcc, v10, v2
	v_addc_co_u32_e32 v3, vcc, v11, v3, vcc
	v_mov_b32_e32 v7, v4
	global_store_dword v[2:3], v1, off
	v_lshlrev_b64 v[2:3], 2, v[6:7]
	v_add_u32_e32 v6, 0x5b, v29
	v_mad_u64_u32 v[4:5], s[0:1], s2, v6, 0
	ds_read2_b32 v[0:1], v9 offset0:78 offset1:91
	v_add_u32_e32 v8, 0x68, v29
	v_mad_u64_u32 v[5:6], s[0:1], s3, v6, v[5:6]
	v_mad_u64_u32 v[6:7], s[0:1], s2, v8, 0
	v_add_co_u32_e32 v2, vcc, v10, v2
	v_addc_co_u32_e32 v3, vcc, v11, v3, vcc
	s_waitcnt lgkmcnt(0)
	global_store_dword v[2:3], v0, off
	v_mov_b32_e32 v0, v7
	v_lshlrev_b64 v[2:3], 2, v[4:5]
	v_mad_u64_u32 v[4:5], s[0:1], s3, v8, v[0:1]
	v_add_co_u32_e32 v2, vcc, v10, v2
	v_addc_co_u32_e32 v3, vcc, v11, v3, vcc
	v_mov_b32_e32 v7, v4
	global_store_dword v[2:3], v1, off
	v_lshlrev_b64 v[2:3], 2, v[6:7]
	v_add_u32_e32 v6, 0x75, v29
	v_mad_u64_u32 v[4:5], s[0:1], s2, v6, 0
	ds_read2_b32 v[0:1], v9 offset0:104 offset1:117
	v_add_u32_e32 v8, 0x82, v29
	v_mad_u64_u32 v[5:6], s[0:1], s3, v6, v[5:6]
	v_mad_u64_u32 v[6:7], s[0:1], s2, v8, 0
	v_add_co_u32_e32 v2, vcc, v10, v2
	v_addc_co_u32_e32 v3, vcc, v11, v3, vcc
	s_waitcnt lgkmcnt(0)
	global_store_dword v[2:3], v0, off
	v_mov_b32_e32 v0, v7
	v_lshlrev_b64 v[2:3], 2, v[4:5]
	v_mad_u64_u32 v[4:5], s[0:1], s3, v8, v[0:1]
	v_add_co_u32_e32 v2, vcc, v10, v2
	v_addc_co_u32_e32 v3, vcc, v11, v3, vcc
	v_mov_b32_e32 v7, v4
	global_store_dword v[2:3], v1, off
	v_lshlrev_b64 v[2:3], 2, v[6:7]
	v_add_u32_e32 v6, 0x8f, v29
	v_mad_u64_u32 v[4:5], s[0:1], s2, v6, 0
	ds_read2_b32 v[0:1], v9 offset0:130 offset1:143
	v_add_u32_e32 v8, 0x9c, v29
	v_mad_u64_u32 v[5:6], s[0:1], s3, v6, v[5:6]
	v_mad_u64_u32 v[6:7], s[0:1], s2, v8, 0
	v_add_co_u32_e32 v2, vcc, v10, v2
	v_addc_co_u32_e32 v3, vcc, v11, v3, vcc
	s_waitcnt lgkmcnt(0)
	global_store_dword v[2:3], v0, off
	v_mov_b32_e32 v0, v7
	v_lshlrev_b64 v[2:3], 2, v[4:5]
	v_mad_u64_u32 v[4:5], s[0:1], s3, v8, v[0:1]
	v_add_co_u32_e32 v2, vcc, v10, v2
	v_addc_co_u32_e32 v3, vcc, v11, v3, vcc
	v_mov_b32_e32 v7, v4
	global_store_dword v[2:3], v1, off
	v_lshlrev_b64 v[2:3], 2, v[6:7]
	v_add_u32_e32 v6, 0xa9, v29
	v_mad_u64_u32 v[4:5], s[0:1], s2, v6, 0
	ds_read2_b32 v[0:1], v9 offset0:156 offset1:169
	v_add_u32_e32 v8, 0xb6, v29
	v_mad_u64_u32 v[5:6], s[0:1], s3, v6, v[5:6]
	v_mad_u64_u32 v[6:7], s[0:1], s2, v8, 0
	v_add_co_u32_e32 v2, vcc, v10, v2
	v_addc_co_u32_e32 v3, vcc, v11, v3, vcc
	s_waitcnt lgkmcnt(0)
	global_store_dword v[2:3], v0, off
	v_mov_b32_e32 v0, v7
	v_lshlrev_b64 v[2:3], 2, v[4:5]
	v_mad_u64_u32 v[4:5], s[0:1], s3, v8, v[0:1]
	v_add_co_u32_e32 v2, vcc, v10, v2
	v_addc_co_u32_e32 v3, vcc, v11, v3, vcc
	v_mov_b32_e32 v7, v4
	global_store_dword v[2:3], v1, off
	v_lshlrev_b64 v[2:3], 2, v[6:7]
	v_add_u32_e32 v6, 0xc3, v29
	v_mad_u64_u32 v[4:5], s[0:1], s2, v6, 0
	ds_read2_b32 v[0:1], v9 offset0:182 offset1:195
	v_add_u32_e32 v8, 0xd0, v29
	v_mad_u64_u32 v[5:6], s[0:1], s3, v6, v[5:6]
	v_mad_u64_u32 v[6:7], s[0:1], s2, v8, 0
	v_add_co_u32_e32 v2, vcc, v10, v2
	v_addc_co_u32_e32 v3, vcc, v11, v3, vcc
	s_waitcnt lgkmcnt(0)
	global_store_dword v[2:3], v0, off
	v_mov_b32_e32 v0, v7
	v_lshlrev_b64 v[2:3], 2, v[4:5]
	v_mad_u64_u32 v[4:5], s[0:1], s3, v8, v[0:1]
	v_add_co_u32_e32 v2, vcc, v10, v2
	v_addc_co_u32_e32 v3, vcc, v11, v3, vcc
	v_mov_b32_e32 v7, v4
	global_store_dword v[2:3], v1, off
	v_lshlrev_b64 v[2:3], 2, v[6:7]
	v_add_u32_e32 v6, 0xdd, v29
	v_mad_u64_u32 v[4:5], s[0:1], s2, v6, 0
	ds_read2_b32 v[0:1], v9 offset0:208 offset1:221
	v_add_u32_e32 v8, 0xea, v29
	v_mad_u64_u32 v[5:6], s[0:1], s3, v6, v[5:6]
	v_mad_u64_u32 v[6:7], s[0:1], s2, v8, 0
	v_add_co_u32_e32 v2, vcc, v10, v2
	v_addc_co_u32_e32 v3, vcc, v11, v3, vcc
	s_waitcnt lgkmcnt(0)
	global_store_dword v[2:3], v0, off
	v_mov_b32_e32 v0, v7
	v_lshlrev_b64 v[2:3], 2, v[4:5]
	v_mad_u64_u32 v[4:5], s[0:1], s3, v8, v[0:1]
	v_add_co_u32_e32 v2, vcc, v10, v2
	v_addc_co_u32_e32 v3, vcc, v11, v3, vcc
	v_mov_b32_e32 v7, v4
	global_store_dword v[2:3], v1, off
	v_lshlrev_b64 v[2:3], 2, v[6:7]
	v_add_u32_e32 v6, 0xf7, v29
	v_mad_u64_u32 v[4:5], s[0:1], s2, v6, 0
	ds_read2_b32 v[0:1], v9 offset0:234 offset1:247
	v_add_u32_e32 v8, 0x104, v29
	v_mad_u64_u32 v[5:6], s[0:1], s3, v6, v[5:6]
	v_mad_u64_u32 v[6:7], s[0:1], s2, v8, 0
	v_add_co_u32_e32 v2, vcc, v10, v2
	v_addc_co_u32_e32 v3, vcc, v11, v3, vcc
	s_waitcnt lgkmcnt(0)
	global_store_dword v[2:3], v0, off
	v_mov_b32_e32 v0, v7
	v_lshlrev_b64 v[2:3], 2, v[4:5]
	v_mad_u64_u32 v[4:5], s[0:1], s3, v8, v[0:1]
	v_add_co_u32_e32 v2, vcc, v10, v2
	v_addc_co_u32_e32 v3, vcc, v11, v3, vcc
	global_store_dword v[2:3], v1, off
	v_mov_b32_e32 v7, v4
	ds_read_b32 v2, v9 offset:1040
	v_lshlrev_b64 v[0:1], 2, v[6:7]
	v_add_co_u32_e32 v0, vcc, v10, v0
	v_addc_co_u32_e32 v1, vcc, v11, v1, vcc
	s_waitcnt lgkmcnt(0)
	global_store_dword v[0:1], v2, off
.LBB0_17:
	s_endpgm
	.section	.rodata,"a",@progbits
	.p2align	6, 0x0
	.amdhsa_kernel fft_rtc_fwd_len273_factors_13_3_7_wgs_52_tpt_13_half_op_CI_CI_sbrr_dirReg
		.amdhsa_group_segment_fixed_size 0
		.amdhsa_private_segment_fixed_size 0
		.amdhsa_kernarg_size 104
		.amdhsa_user_sgpr_count 6
		.amdhsa_user_sgpr_private_segment_buffer 1
		.amdhsa_user_sgpr_dispatch_ptr 0
		.amdhsa_user_sgpr_queue_ptr 0
		.amdhsa_user_sgpr_kernarg_segment_ptr 1
		.amdhsa_user_sgpr_dispatch_id 0
		.amdhsa_user_sgpr_flat_scratch_init 0
		.amdhsa_user_sgpr_private_segment_size 0
		.amdhsa_uses_dynamic_stack 0
		.amdhsa_system_sgpr_private_segment_wavefront_offset 0
		.amdhsa_system_sgpr_workgroup_id_x 1
		.amdhsa_system_sgpr_workgroup_id_y 0
		.amdhsa_system_sgpr_workgroup_id_z 0
		.amdhsa_system_sgpr_workgroup_info 0
		.amdhsa_system_vgpr_workitem_id 0
		.amdhsa_next_free_vgpr 100
		.amdhsa_next_free_sgpr 44
		.amdhsa_reserve_vcc 1
		.amdhsa_reserve_flat_scratch 0
		.amdhsa_float_round_mode_32 0
		.amdhsa_float_round_mode_16_64 0
		.amdhsa_float_denorm_mode_32 3
		.amdhsa_float_denorm_mode_16_64 3
		.amdhsa_dx10_clamp 1
		.amdhsa_ieee_mode 1
		.amdhsa_fp16_overflow 0
		.amdhsa_exception_fp_ieee_invalid_op 0
		.amdhsa_exception_fp_denorm_src 0
		.amdhsa_exception_fp_ieee_div_zero 0
		.amdhsa_exception_fp_ieee_overflow 0
		.amdhsa_exception_fp_ieee_underflow 0
		.amdhsa_exception_fp_ieee_inexact 0
		.amdhsa_exception_int_div_zero 0
	.end_amdhsa_kernel
	.text
.Lfunc_end0:
	.size	fft_rtc_fwd_len273_factors_13_3_7_wgs_52_tpt_13_half_op_CI_CI_sbrr_dirReg, .Lfunc_end0-fft_rtc_fwd_len273_factors_13_3_7_wgs_52_tpt_13_half_op_CI_CI_sbrr_dirReg
                                        ; -- End function
	.section	.AMDGPU.csdata,"",@progbits
; Kernel info:
; codeLenInByte = 14044
; NumSgprs: 48
; NumVgprs: 100
; ScratchSize: 0
; MemoryBound: 0
; FloatMode: 240
; IeeeMode: 1
; LDSByteSize: 0 bytes/workgroup (compile time only)
; SGPRBlocks: 5
; VGPRBlocks: 24
; NumSGPRsForWavesPerEU: 48
; NumVGPRsForWavesPerEU: 100
; Occupancy: 2
; WaveLimiterHint : 1
; COMPUTE_PGM_RSRC2:SCRATCH_EN: 0
; COMPUTE_PGM_RSRC2:USER_SGPR: 6
; COMPUTE_PGM_RSRC2:TRAP_HANDLER: 0
; COMPUTE_PGM_RSRC2:TGID_X_EN: 1
; COMPUTE_PGM_RSRC2:TGID_Y_EN: 0
; COMPUTE_PGM_RSRC2:TGID_Z_EN: 0
; COMPUTE_PGM_RSRC2:TIDIG_COMP_CNT: 0
	.type	__hip_cuid_4976ace85c2ccbe,@object ; @__hip_cuid_4976ace85c2ccbe
	.section	.bss,"aw",@nobits
	.globl	__hip_cuid_4976ace85c2ccbe
__hip_cuid_4976ace85c2ccbe:
	.byte	0                               ; 0x0
	.size	__hip_cuid_4976ace85c2ccbe, 1

	.ident	"AMD clang version 19.0.0git (https://github.com/RadeonOpenCompute/llvm-project roc-6.4.0 25133 c7fe45cf4b819c5991fe208aaa96edf142730f1d)"
	.section	".note.GNU-stack","",@progbits
	.addrsig
	.addrsig_sym __hip_cuid_4976ace85c2ccbe
	.amdgpu_metadata
---
amdhsa.kernels:
  - .args:
      - .actual_access:  read_only
        .address_space:  global
        .offset:         0
        .size:           8
        .value_kind:     global_buffer
      - .offset:         8
        .size:           8
        .value_kind:     by_value
      - .actual_access:  read_only
        .address_space:  global
        .offset:         16
        .size:           8
        .value_kind:     global_buffer
      - .actual_access:  read_only
        .address_space:  global
        .offset:         24
        .size:           8
        .value_kind:     global_buffer
      - .actual_access:  read_only
        .address_space:  global
        .offset:         32
        .size:           8
        .value_kind:     global_buffer
      - .offset:         40
        .size:           8
        .value_kind:     by_value
      - .actual_access:  read_only
        .address_space:  global
        .offset:         48
        .size:           8
        .value_kind:     global_buffer
      - .actual_access:  read_only
        .address_space:  global
        .offset:         56
        .size:           8
        .value_kind:     global_buffer
      - .offset:         64
        .size:           4
        .value_kind:     by_value
      - .actual_access:  read_only
        .address_space:  global
        .offset:         72
        .size:           8
        .value_kind:     global_buffer
      - .actual_access:  read_only
        .address_space:  global
        .offset:         80
        .size:           8
        .value_kind:     global_buffer
      - .actual_access:  read_only
        .address_space:  global
        .offset:         88
        .size:           8
        .value_kind:     global_buffer
      - .actual_access:  write_only
        .address_space:  global
        .offset:         96
        .size:           8
        .value_kind:     global_buffer
    .group_segment_fixed_size: 0
    .kernarg_segment_align: 8
    .kernarg_segment_size: 104
    .language:       OpenCL C
    .language_version:
      - 2
      - 0
    .max_flat_workgroup_size: 52
    .name:           fft_rtc_fwd_len273_factors_13_3_7_wgs_52_tpt_13_half_op_CI_CI_sbrr_dirReg
    .private_segment_fixed_size: 0
    .sgpr_count:     48
    .sgpr_spill_count: 0
    .symbol:         fft_rtc_fwd_len273_factors_13_3_7_wgs_52_tpt_13_half_op_CI_CI_sbrr_dirReg.kd
    .uniform_work_group_size: 1
    .uses_dynamic_stack: false
    .vgpr_count:     100
    .vgpr_spill_count: 0
    .wavefront_size: 64
amdhsa.target:   amdgcn-amd-amdhsa--gfx906
amdhsa.version:
  - 1
  - 2
...

	.end_amdgpu_metadata
